;; amdgpu-corpus repo=ROCm/rocBLAS kind=compiled arch=gfx906 opt=O3
	.amdgcn_target "amdgcn-amd-amdhsa--gfx906"
	.amdhsa_code_object_version 6
	.section	.text._ZL34rocblas_ger_double_buffered_kernelILb0ELi128ELi8ELi8Ef24rocblas_internal_val_ptrIfEPKfPfEvbiiT4_lT5_lllS6_lllT6_lmli,"axG",@progbits,_ZL34rocblas_ger_double_buffered_kernelILb0ELi128ELi8ELi8Ef24rocblas_internal_val_ptrIfEPKfPfEvbiiT4_lT5_lllS6_lllT6_lmli,comdat
	.globl	_ZL34rocblas_ger_double_buffered_kernelILb0ELi128ELi8ELi8Ef24rocblas_internal_val_ptrIfEPKfPfEvbiiT4_lT5_lllS6_lllT6_lmli ; -- Begin function _ZL34rocblas_ger_double_buffered_kernelILb0ELi128ELi8ELi8Ef24rocblas_internal_val_ptrIfEPKfPfEvbiiT4_lT5_lllS6_lllT6_lmli
	.p2align	8
	.type	_ZL34rocblas_ger_double_buffered_kernelILb0ELi128ELi8ELi8Ef24rocblas_internal_val_ptrIfEPKfPfEvbiiT4_lT5_lllS6_lllT6_lmli,@function
_ZL34rocblas_ger_double_buffered_kernelILb0ELi128ELi8ELi8Ef24rocblas_internal_val_ptrIfEPKfPfEvbiiT4_lT5_lllS6_lllT6_lmli: ; @_ZL34rocblas_ger_double_buffered_kernelILb0ELi128ELi8ELi8Ef24rocblas_internal_val_ptrIfEPKfPfEvbiiT4_lT5_lllS6_lllT6_lmli
; %bb.0:
	s_load_dword s9, s[4:5], 0x0
	s_load_dwordx4 s[0:3], s[4:5], 0x10
	s_waitcnt lgkmcnt(0)
	s_bitcmp0_b32 s9, 0
	s_cbranch_scc0 .LBB0_2
; %bb.1:
	s_mul_i32 s3, s3, s8
	s_mul_hi_u32 s9, s2, s8
	s_add_i32 s3, s9, s3
	s_mul_i32 s2, s2, s8
	s_lshl_b64 s[2:3], s[2:3], 2
	s_add_u32 s2, s0, s2
	s_addc_u32 s3, s1, s3
	s_load_dword s9, s[2:3], 0x0
	s_cbranch_execz .LBB0_3
	s_branch .LBB0_4
.LBB0_2:
                                        ; implicit-def: $sgpr9
.LBB0_3:
	s_waitcnt lgkmcnt(0)
	s_mov_b32 s9, s0
.LBB0_4:
	s_waitcnt lgkmcnt(0)
	v_cmp_eq_f32_e64 s[0:1], s9, 0
	s_and_b64 vcc, exec, s[0:1]
	s_cbranch_vccnz .LBB0_6
; %bb.5:
	s_load_dwordx8 s[12:19], s[4:5], 0x58
	s_load_dwordx8 s[20:27], s[4:5], 0x38
	s_load_dwordx2 s[10:11], s[4:5], 0x78
	s_load_dwordx2 s[28:29], s[4:5], 0x20
	s_load_dwordx4 s[0:3], s[4:5], 0x28
	v_and_b32_e32 v4, 63, v0
	v_lshl_add_u32 v2, v1, 7, v0
	s_waitcnt lgkmcnt(0)
	s_mul_i32 s4, s11, s8
	s_mul_hi_u32 s5, s10, s8
	s_add_i32 s5, s5, s4
	s_mul_i32 s4, s10, s8
	s_lshl_b64 s[4:5], s[4:5], 2
	s_add_u32 s10, s14, s4
	s_addc_u32 s11, s15, s5
	s_lshl_b64 s[4:5], s[16:17], 2
	s_add_u32 s10, s10, s4
	s_addc_u32 s11, s11, s5
	s_mul_i32 s4, s13, s8
	s_mul_hi_u32 s5, s12, s8
	s_add_i32 s5, s5, s4
	s_mul_i32 s4, s12, s8
	s_lshl_b64 s[4:5], s[4:5], 2
	s_add_u32 s14, s22, s4
	s_addc_u32 s15, s23, s5
	s_mul_i32 s4, s21, s8
	s_mul_hi_u32 s5, s20, s8
	s_add_i32 s5, s5, s4
	s_mul_i32 s4, s20, s8
	s_lshl_b64 s[4:5], s[4:5], 2
	s_add_u32 s4, s28, s4
	s_addc_u32 s5, s29, s5
	s_lshl_b64 s[0:1], s[0:1], 2
	s_add_u32 s12, s4, s0
	s_addc_u32 s13, s5, s1
	s_lshl_b32 s0, s6, 7
	s_ashr_i32 s1, s0, 31
	s_lshl_b64 s[4:5], s[0:1], 2
	s_add_u32 s6, s10, s4
	s_addc_u32 s10, s11, s5
	s_lshl_b32 s11, s7, 7
	s_ashr_i32 s7, s11, 31
	s_mul_i32 s4, s18, s7
	s_mul_hi_u32 s5, s18, s11
	s_add_i32 s4, s5, s4
	s_mul_i32 s5, s19, s11
	s_add_i32 s5, s4, s5
	s_mul_i32 s4, s18, s11
	s_lshl_b64 s[4:5], s[4:5], 2
	s_add_u32 s8, s6, s4
	s_mul_i32 s1, s2, s1
	s_mul_hi_u32 s4, s2, s0
	s_addc_u32 s10, s10, s5
	s_add_i32 s1, s4, s1
	s_mul_i32 s4, s3, s0
	s_add_i32 s1, s1, s4
	s_mul_i32 s0, s2, s0
	s_lshl_b64 s[0:1], s[0:1], 2
	s_add_u32 s4, s12, s0
	s_addc_u32 s5, s13, s1
	s_mul_i32 s0, s26, s7
	s_mul_hi_u32 s1, s26, s11
	s_add_i32 s0, s1, s0
	s_mul_i32 s1, s27, s11
	s_add_i32 s7, s0, s1
	v_mad_u64_u32 v[0:1], s[0:1], s2, v4, 0
	v_lshrrev_b32_e32 v6, 3, v2
	v_or_b32_e32 v7, 64, v4
	v_mad_u64_u32 v[1:2], s[0:1], s3, v4, v[1:2]
	v_mad_u64_u32 v[2:3], s[0:1], s2, v7, 0
	v_lshlrev_b64 v[0:1], 2, v[0:1]
	v_mov_b32_e32 v9, s5
	v_mad_u64_u32 v[7:8], s[0:1], s3, v7, v[3:4]
	v_add_co_u32_e32 v0, vcc, s4, v0
	v_mov_b32_e32 v3, v7
	v_lshlrev_b64 v[2:3], 2, v[2:3]
	v_addc_co_u32_e32 v1, vcc, v9, v1, vcc
	v_mov_b32_e32 v7, s5
	v_add_co_u32_e32 v2, vcc, s4, v2
	s_lshl_b64 s[0:1], s[18:19], 2
	s_lshl_b64 s[2:3], s[18:19], 3
	;; [unrolled: 1-line block ×4, first 2 shown]
	s_mul_i32 s6, s26, s11
	v_and_b32_e32 v5, 0x7ff8, v6
	s_add_u32 s11, s14, s12
	v_addc_co_u32_e32 v3, vcc, v7, v3, vcc
	s_addc_u32 s14, s15, s13
	v_mad_u64_u32 v[7:8], s[12:13], s26, v5, 0
	s_lshl_b64 s[6:7], s[6:7], 2
	s_add_u32 s11, s11, s6
	s_addc_u32 s12, s14, s7
	v_mad_u64_u32 v[8:9], s[6:7], s27, v5, v[8:9]
	v_or_b32_e32 v11, 1, v5
	v_mad_u64_u32 v[9:10], s[6:7], s26, v11, 0
	v_lshlrev_b64 v[7:8], 2, v[7:8]
	v_mov_b32_e32 v13, s12
	v_mad_u64_u32 v[10:11], s[6:7], s27, v11, v[10:11]
	v_add_co_u32_e32 v12, vcc, s11, v7
	v_or_b32_e32 v14, 2, v5
	v_addc_co_u32_e32 v13, vcc, v13, v8, vcc
	v_lshlrev_b64 v[7:8], 2, v[9:10]
	v_mad_u64_u32 v[9:10], s[6:7], s26, v14, 0
	v_mov_b32_e32 v11, s12
	v_add_co_u32_e32 v16, vcc, s11, v7
	v_mov_b32_e32 v7, v10
	v_addc_co_u32_e32 v17, vcc, v11, v8, vcc
	v_mad_u64_u32 v[7:8], s[6:7], s27, v14, v[7:8]
	v_or_b32_e32 v11, 3, v5
	v_mad_u64_u32 v[14:15], s[6:7], s26, v11, 0
	v_mov_b32_e32 v10, v7
	v_lshlrev_b64 v[7:8], 2, v[9:10]
	v_mov_b32_e32 v9, v15
	v_mad_u64_u32 v[9:10], s[6:7], s27, v11, v[9:10]
	v_mov_b32_e32 v19, s12
	v_add_co_u32_e32 v18, vcc, s11, v7
	v_or_b32_e32 v11, 4, v5
	v_addc_co_u32_e32 v19, vcc, v19, v8, vcc
	v_mad_u64_u32 v[7:8], s[6:7], s26, v11, 0
	v_mov_b32_e32 v15, v9
	v_lshlrev_b64 v[9:10], 2, v[14:15]
	v_mov_b32_e32 v20, s12
	v_mad_u64_u32 v[14:15], s[6:7], s27, v11, v[8:9]
	v_add_co_u32_e32 v22, vcc, s11, v9
	v_mov_b32_e32 v8, v14
	v_or_b32_e32 v14, 5, v5
	v_addc_co_u32_e32 v23, vcc, v20, v10, vcc
	v_mad_u64_u32 v[9:10], s[6:7], s26, v14, 0
	v_lshlrev_b64 v[7:8], 2, v[7:8]
	v_mov_b32_e32 v11, s12
	v_add_co_u32_e32 v26, vcc, s11, v7
	v_mov_b32_e32 v7, v10
	v_addc_co_u32_e32 v27, vcc, v11, v8, vcc
	v_mad_u64_u32 v[7:8], s[6:7], s27, v14, v[7:8]
	v_or_b32_e32 v11, 6, v5
	v_mad_u64_u32 v[14:15], s[6:7], s26, v11, 0
	v_mov_b32_e32 v10, v7
	v_lshlrev_b64 v[7:8], 2, v[9:10]
	v_mov_b32_e32 v9, v15
	v_mad_u64_u32 v[9:10], s[6:7], s27, v11, v[9:10]
	v_add_co_u32_e32 v28, vcc, s11, v7
	v_mov_b32_e32 v15, v9
	v_addc_co_u32_e32 v29, vcc, v20, v8, vcc
	v_lshlrev_b64 v[7:8], 2, v[14:15]
	v_mov_b32_e32 v9, s12
	v_add_co_u32_e32 v24, vcc, s11, v7
	v_or_b32_e32 v10, 7, v6
	v_mad_u64_u32 v[6:7], s[6:7], s26, v10, 0
	v_addc_co_u32_e32 v25, vcc, v9, v8, vcc
	v_mad_u64_u32 v[8:9], s[6:7], s18, v5, 0
	v_lshlrev_b32_e32 v4, 2, v4
	global_load_dword v35, v[0:1], off
	global_load_dword v31, v[2:3], off
	v_mad_u64_u32 v[10:11], s[6:7], s27, v10, v[7:8]
	v_mov_b32_e32 v7, v9
	v_mad_u64_u32 v[14:15], s[6:7], s19, v5, v[7:8]
	v_mov_b32_e32 v5, s10
	v_mov_b32_e32 v7, v10
	;; [unrolled: 1-line block ×3, first 2 shown]
	v_lshlrev_b64 v[8:9], 2, v[8:9]
	v_lshlrev_b64 v[6:7], 2, v[6:7]
	v_add_co_u32_e32 v8, vcc, s8, v8
	v_addc_co_u32_e32 v5, vcc, v5, v9, vcc
	v_add_co_u32_e32 v8, vcc, v8, v4
	v_addc_co_u32_e32 v9, vcc, 0, v5, vcc
	v_mad_u64_u32 v[4:5], s[6:7], s18, 12, v[8:9]
	v_mov_b32_e32 v10, s12
	v_add_co_u32_e32 v33, vcc, s11, v6
	v_mad_u64_u32 v[5:6], s[6:7], s19, 12, v[5:6]
	v_addc_co_u32_e32 v34, vcc, v10, v7, vcc
	v_mad_u64_u32 v[6:7], s[6:7], s18, 20, v[8:9]
	v_mov_b32_e32 v0, s1
	v_mov_b32_e32 v1, s3
	v_mad_u64_u32 v[10:11], s[6:7], s19, 20, v[7:8]
	v_mov_b32_e32 v3, s5
	v_mov_b32_e32 v7, v10
	v_mad_u64_u32 v[10:11], s[6:7], s18, 24, v[8:9]
	v_mad_u64_u32 v[14:15], s[6:7], s19, 24, v[11:12]
	v_mov_b32_e32 v11, v14
	v_mad_u64_u32 v[14:15], s[6:7], s18, 28, v[8:9]
	v_mad_u64_u32 v[20:21], s[6:7], s19, 28, v[15:16]
	v_mov_b32_e32 v15, v20
	v_add_co_u32_e32 v20, vcc, s0, v8
	v_addc_co_u32_e32 v21, vcc, v9, v0, vcc
	v_add_co_u32_e32 v0, vcc, s2, v8
	v_addc_co_u32_e32 v1, vcc, v9, v1, vcc
	;; [unrolled: 2-line block ×3, first 2 shown]
	global_load_dword v32, v[12:13], off
	global_load_dword v30, v[16:17], off
	s_nop 0
	global_load_dword v12, v[18:19], off
	global_load_dword v13, v[22:23], off
	;; [unrolled: 1-line block ×4, first 2 shown]
                                        ; kill: killed $vgpr28 killed $vgpr29
                                        ; kill: killed $vgpr26 killed $vgpr27
	s_nop 0
	global_load_dword v18, v[24:25], off
	global_load_dword v19, v[33:34], off
	;; [unrolled: 1-line block ×4, first 2 shown]
                                        ; kill: killed $vgpr24 killed $vgpr25
                                        ; kill: killed $vgpr33 killed $vgpr34
	s_nop 0
	global_load_dword v24, v[0:1], off
	global_load_dword v26, v[4:5], off
	;; [unrolled: 1-line block ×6, first 2 shown]
	s_waitcnt vmcnt(17)
	v_mul_f32_e32 v25, s9, v35
	s_waitcnt vmcnt(7)
	v_fmac_f32_e32 v22, v25, v32
	s_waitcnt vmcnt(6)
	v_fmac_f32_e32 v23, v25, v30
	;; [unrolled: 2-line block ×8, first 2 shown]
	global_load_dword v25, v[2:3], off offset:256
	global_load_dword v34, v[0:1], off offset:256
	global_load_dword v35, v[20:21], off offset:256
	global_load_dword v36, v[4:5], off offset:256
	global_load_dword v37, v[6:7], off offset:256
	global_load_dword v38, v[10:11], off offset:256
	global_load_dword v39, v[14:15], off offset:256
	s_nop 0
	global_store_dword v[8:9], v22, off
	global_load_dword v22, v[8:9], off offset:256
	s_nop 0
	global_store_dword v[20:21], v23, off
	global_store_dword v[0:1], v24, off
	;; [unrolled: 1-line block ×7, first 2 shown]
	v_mul_f32_e32 v23, s9, v31
	s_waitcnt vmcnt(15)
	v_fmac_f32_e32 v25, v23, v16
	s_waitcnt vmcnt(14)
	v_fmac_f32_e32 v34, v23, v12
	;; [unrolled: 2-line block ×8, first 2 shown]
	global_store_dword v[8:9], v22, off offset:256
	global_store_dword v[20:21], v35, off offset:256
	global_store_dword v[0:1], v34, off offset:256
	global_store_dword v[4:5], v36, off offset:256
	global_store_dword v[2:3], v25, off offset:256
	global_store_dword v[6:7], v37, off offset:256
	global_store_dword v[10:11], v38, off offset:256
	global_store_dword v[14:15], v39, off offset:256
.LBB0_6:
	s_endpgm
	.section	.rodata,"a",@progbits
	.p2align	6, 0x0
	.amdhsa_kernel _ZL34rocblas_ger_double_buffered_kernelILb0ELi128ELi8ELi8Ef24rocblas_internal_val_ptrIfEPKfPfEvbiiT4_lT5_lllS6_lllT6_lmli
		.amdhsa_group_segment_fixed_size 0
		.amdhsa_private_segment_fixed_size 0
		.amdhsa_kernarg_size 132
		.amdhsa_user_sgpr_count 6
		.amdhsa_user_sgpr_private_segment_buffer 1
		.amdhsa_user_sgpr_dispatch_ptr 0
		.amdhsa_user_sgpr_queue_ptr 0
		.amdhsa_user_sgpr_kernarg_segment_ptr 1
		.amdhsa_user_sgpr_dispatch_id 0
		.amdhsa_user_sgpr_flat_scratch_init 0
		.amdhsa_user_sgpr_private_segment_size 0
		.amdhsa_uses_dynamic_stack 0
		.amdhsa_system_sgpr_private_segment_wavefront_offset 0
		.amdhsa_system_sgpr_workgroup_id_x 1
		.amdhsa_system_sgpr_workgroup_id_y 1
		.amdhsa_system_sgpr_workgroup_id_z 1
		.amdhsa_system_sgpr_workgroup_info 0
		.amdhsa_system_vgpr_workitem_id 1
		.amdhsa_next_free_vgpr 40
		.amdhsa_next_free_sgpr 30
		.amdhsa_reserve_vcc 1
		.amdhsa_reserve_flat_scratch 0
		.amdhsa_float_round_mode_32 0
		.amdhsa_float_round_mode_16_64 0
		.amdhsa_float_denorm_mode_32 3
		.amdhsa_float_denorm_mode_16_64 3
		.amdhsa_dx10_clamp 1
		.amdhsa_ieee_mode 1
		.amdhsa_fp16_overflow 0
		.amdhsa_exception_fp_ieee_invalid_op 0
		.amdhsa_exception_fp_denorm_src 0
		.amdhsa_exception_fp_ieee_div_zero 0
		.amdhsa_exception_fp_ieee_overflow 0
		.amdhsa_exception_fp_ieee_underflow 0
		.amdhsa_exception_fp_ieee_inexact 0
		.amdhsa_exception_int_div_zero 0
	.end_amdhsa_kernel
	.section	.text._ZL34rocblas_ger_double_buffered_kernelILb0ELi128ELi8ELi8Ef24rocblas_internal_val_ptrIfEPKfPfEvbiiT4_lT5_lllS6_lllT6_lmli,"axG",@progbits,_ZL34rocblas_ger_double_buffered_kernelILb0ELi128ELi8ELi8Ef24rocblas_internal_val_ptrIfEPKfPfEvbiiT4_lT5_lllS6_lllT6_lmli,comdat
.Lfunc_end0:
	.size	_ZL34rocblas_ger_double_buffered_kernelILb0ELi128ELi8ELi8Ef24rocblas_internal_val_ptrIfEPKfPfEvbiiT4_lT5_lllS6_lllT6_lmli, .Lfunc_end0-_ZL34rocblas_ger_double_buffered_kernelILb0ELi128ELi8ELi8Ef24rocblas_internal_val_ptrIfEPKfPfEvbiiT4_lT5_lllS6_lllT6_lmli
                                        ; -- End function
	.set _ZL34rocblas_ger_double_buffered_kernelILb0ELi128ELi8ELi8Ef24rocblas_internal_val_ptrIfEPKfPfEvbiiT4_lT5_lllS6_lllT6_lmli.num_vgpr, 40
	.set _ZL34rocblas_ger_double_buffered_kernelILb0ELi128ELi8ELi8Ef24rocblas_internal_val_ptrIfEPKfPfEvbiiT4_lT5_lllS6_lllT6_lmli.num_agpr, 0
	.set _ZL34rocblas_ger_double_buffered_kernelILb0ELi128ELi8ELi8Ef24rocblas_internal_val_ptrIfEPKfPfEvbiiT4_lT5_lllS6_lllT6_lmli.numbered_sgpr, 30
	.set _ZL34rocblas_ger_double_buffered_kernelILb0ELi128ELi8ELi8Ef24rocblas_internal_val_ptrIfEPKfPfEvbiiT4_lT5_lllS6_lllT6_lmli.num_named_barrier, 0
	.set _ZL34rocblas_ger_double_buffered_kernelILb0ELi128ELi8ELi8Ef24rocblas_internal_val_ptrIfEPKfPfEvbiiT4_lT5_lllS6_lllT6_lmli.private_seg_size, 0
	.set _ZL34rocblas_ger_double_buffered_kernelILb0ELi128ELi8ELi8Ef24rocblas_internal_val_ptrIfEPKfPfEvbiiT4_lT5_lllS6_lllT6_lmli.uses_vcc, 1
	.set _ZL34rocblas_ger_double_buffered_kernelILb0ELi128ELi8ELi8Ef24rocblas_internal_val_ptrIfEPKfPfEvbiiT4_lT5_lllS6_lllT6_lmli.uses_flat_scratch, 0
	.set _ZL34rocblas_ger_double_buffered_kernelILb0ELi128ELi8ELi8Ef24rocblas_internal_val_ptrIfEPKfPfEvbiiT4_lT5_lllS6_lllT6_lmli.has_dyn_sized_stack, 0
	.set _ZL34rocblas_ger_double_buffered_kernelILb0ELi128ELi8ELi8Ef24rocblas_internal_val_ptrIfEPKfPfEvbiiT4_lT5_lllS6_lllT6_lmli.has_recursion, 0
	.set _ZL34rocblas_ger_double_buffered_kernelILb0ELi128ELi8ELi8Ef24rocblas_internal_val_ptrIfEPKfPfEvbiiT4_lT5_lllS6_lllT6_lmli.has_indirect_call, 0
	.section	.AMDGPU.csdata,"",@progbits
; Kernel info:
; codeLenInByte = 1536
; TotalNumSgprs: 34
; NumVgprs: 40
; ScratchSize: 0
; MemoryBound: 0
; FloatMode: 240
; IeeeMode: 1
; LDSByteSize: 0 bytes/workgroup (compile time only)
; SGPRBlocks: 4
; VGPRBlocks: 9
; NumSGPRsForWavesPerEU: 34
; NumVGPRsForWavesPerEU: 40
; Occupancy: 6
; WaveLimiterHint : 0
; COMPUTE_PGM_RSRC2:SCRATCH_EN: 0
; COMPUTE_PGM_RSRC2:USER_SGPR: 6
; COMPUTE_PGM_RSRC2:TRAP_HANDLER: 0
; COMPUTE_PGM_RSRC2:TGID_X_EN: 1
; COMPUTE_PGM_RSRC2:TGID_Y_EN: 1
; COMPUTE_PGM_RSRC2:TGID_Z_EN: 1
; COMPUTE_PGM_RSRC2:TIDIG_COMP_CNT: 1
	.section	.text._ZL26rocblas_sger_gfx942_kernelILi256EfPKfS1_PfEviiT1_lT2_lllS4_lllT3_lll,"axG",@progbits,_ZL26rocblas_sger_gfx942_kernelILi256EfPKfS1_PfEviiT1_lT2_lllS4_lllT3_lll,comdat
	.globl	_ZL26rocblas_sger_gfx942_kernelILi256EfPKfS1_PfEviiT1_lT2_lllS4_lllT3_lll ; -- Begin function _ZL26rocblas_sger_gfx942_kernelILi256EfPKfS1_PfEviiT1_lT2_lllS4_lllT3_lll
	.p2align	8
	.type	_ZL26rocblas_sger_gfx942_kernelILi256EfPKfS1_PfEviiT1_lT2_lllS4_lllT3_lll,@function
_ZL26rocblas_sger_gfx942_kernelILi256EfPKfS1_PfEviiT1_lT2_lllS4_lllT3_lll: ; @_ZL26rocblas_sger_gfx942_kernelILi256EfPKfS1_PfEviiT1_lT2_lllS4_lllT3_lll
; %bb.0:
	s_endpgm
	.section	.rodata,"a",@progbits
	.p2align	6, 0x0
	.amdhsa_kernel _ZL26rocblas_sger_gfx942_kernelILi256EfPKfS1_PfEviiT1_lT2_lllS4_lllT3_lll
		.amdhsa_group_segment_fixed_size 0
		.amdhsa_private_segment_fixed_size 0
		.amdhsa_kernarg_size 120
		.amdhsa_user_sgpr_count 6
		.amdhsa_user_sgpr_private_segment_buffer 1
		.amdhsa_user_sgpr_dispatch_ptr 0
		.amdhsa_user_sgpr_queue_ptr 0
		.amdhsa_user_sgpr_kernarg_segment_ptr 1
		.amdhsa_user_sgpr_dispatch_id 0
		.amdhsa_user_sgpr_flat_scratch_init 0
		.amdhsa_user_sgpr_private_segment_size 0
		.amdhsa_uses_dynamic_stack 0
		.amdhsa_system_sgpr_private_segment_wavefront_offset 0
		.amdhsa_system_sgpr_workgroup_id_x 1
		.amdhsa_system_sgpr_workgroup_id_y 0
		.amdhsa_system_sgpr_workgroup_id_z 0
		.amdhsa_system_sgpr_workgroup_info 0
		.amdhsa_system_vgpr_workitem_id 0
		.amdhsa_next_free_vgpr 1
		.amdhsa_next_free_sgpr 0
		.amdhsa_reserve_vcc 0
		.amdhsa_reserve_flat_scratch 0
		.amdhsa_float_round_mode_32 0
		.amdhsa_float_round_mode_16_64 0
		.amdhsa_float_denorm_mode_32 3
		.amdhsa_float_denorm_mode_16_64 3
		.amdhsa_dx10_clamp 1
		.amdhsa_ieee_mode 1
		.amdhsa_fp16_overflow 0
		.amdhsa_exception_fp_ieee_invalid_op 0
		.amdhsa_exception_fp_denorm_src 0
		.amdhsa_exception_fp_ieee_div_zero 0
		.amdhsa_exception_fp_ieee_overflow 0
		.amdhsa_exception_fp_ieee_underflow 0
		.amdhsa_exception_fp_ieee_inexact 0
		.amdhsa_exception_int_div_zero 0
	.end_amdhsa_kernel
	.section	.text._ZL26rocblas_sger_gfx942_kernelILi256EfPKfS1_PfEviiT1_lT2_lllS4_lllT3_lll,"axG",@progbits,_ZL26rocblas_sger_gfx942_kernelILi256EfPKfS1_PfEviiT1_lT2_lllS4_lllT3_lll,comdat
.Lfunc_end1:
	.size	_ZL26rocblas_sger_gfx942_kernelILi256EfPKfS1_PfEviiT1_lT2_lllS4_lllT3_lll, .Lfunc_end1-_ZL26rocblas_sger_gfx942_kernelILi256EfPKfS1_PfEviiT1_lT2_lllS4_lllT3_lll
                                        ; -- End function
	.set _ZL26rocblas_sger_gfx942_kernelILi256EfPKfS1_PfEviiT1_lT2_lllS4_lllT3_lll.num_vgpr, 0
	.set _ZL26rocblas_sger_gfx942_kernelILi256EfPKfS1_PfEviiT1_lT2_lllS4_lllT3_lll.num_agpr, 0
	.set _ZL26rocblas_sger_gfx942_kernelILi256EfPKfS1_PfEviiT1_lT2_lllS4_lllT3_lll.numbered_sgpr, 0
	.set _ZL26rocblas_sger_gfx942_kernelILi256EfPKfS1_PfEviiT1_lT2_lllS4_lllT3_lll.num_named_barrier, 0
	.set _ZL26rocblas_sger_gfx942_kernelILi256EfPKfS1_PfEviiT1_lT2_lllS4_lllT3_lll.private_seg_size, 0
	.set _ZL26rocblas_sger_gfx942_kernelILi256EfPKfS1_PfEviiT1_lT2_lllS4_lllT3_lll.uses_vcc, 0
	.set _ZL26rocblas_sger_gfx942_kernelILi256EfPKfS1_PfEviiT1_lT2_lllS4_lllT3_lll.uses_flat_scratch, 0
	.set _ZL26rocblas_sger_gfx942_kernelILi256EfPKfS1_PfEviiT1_lT2_lllS4_lllT3_lll.has_dyn_sized_stack, 0
	.set _ZL26rocblas_sger_gfx942_kernelILi256EfPKfS1_PfEviiT1_lT2_lllS4_lllT3_lll.has_recursion, 0
	.set _ZL26rocblas_sger_gfx942_kernelILi256EfPKfS1_PfEviiT1_lT2_lllS4_lllT3_lll.has_indirect_call, 0
	.section	.AMDGPU.csdata,"",@progbits
; Kernel info:
; codeLenInByte = 4
; TotalNumSgprs: 4
; NumVgprs: 0
; ScratchSize: 0
; MemoryBound: 0
; FloatMode: 240
; IeeeMode: 1
; LDSByteSize: 0 bytes/workgroup (compile time only)
; SGPRBlocks: 0
; VGPRBlocks: 0
; NumSGPRsForWavesPerEU: 4
; NumVGPRsForWavesPerEU: 1
; Occupancy: 10
; WaveLimiterHint : 0
; COMPUTE_PGM_RSRC2:SCRATCH_EN: 0
; COMPUTE_PGM_RSRC2:USER_SGPR: 6
; COMPUTE_PGM_RSRC2:TRAP_HANDLER: 0
; COMPUTE_PGM_RSRC2:TGID_X_EN: 1
; COMPUTE_PGM_RSRC2:TGID_Y_EN: 0
; COMPUTE_PGM_RSRC2:TGID_Z_EN: 0
; COMPUTE_PGM_RSRC2:TIDIG_COMP_CNT: 0
	.section	.text._ZL26rocblas_sger_gfx942_kernelILi256EffPKfPfEviiT1_lT2_lllS4_lllT3_lll,"axG",@progbits,_ZL26rocblas_sger_gfx942_kernelILi256EffPKfPfEviiT1_lT2_lllS4_lllT3_lll,comdat
	.globl	_ZL26rocblas_sger_gfx942_kernelILi256EffPKfPfEviiT1_lT2_lllS4_lllT3_lll ; -- Begin function _ZL26rocblas_sger_gfx942_kernelILi256EffPKfPfEviiT1_lT2_lllS4_lllT3_lll
	.p2align	8
	.type	_ZL26rocblas_sger_gfx942_kernelILi256EffPKfPfEviiT1_lT2_lllS4_lllT3_lll,@function
_ZL26rocblas_sger_gfx942_kernelILi256EffPKfPfEviiT1_lT2_lllS4_lllT3_lll: ; @_ZL26rocblas_sger_gfx942_kernelILi256EffPKfPfEviiT1_lT2_lllS4_lllT3_lll
; %bb.0:
	s_endpgm
	.section	.rodata,"a",@progbits
	.p2align	6, 0x0
	.amdhsa_kernel _ZL26rocblas_sger_gfx942_kernelILi256EffPKfPfEviiT1_lT2_lllS4_lllT3_lll
		.amdhsa_group_segment_fixed_size 0
		.amdhsa_private_segment_fixed_size 0
		.amdhsa_kernarg_size 120
		.amdhsa_user_sgpr_count 6
		.amdhsa_user_sgpr_private_segment_buffer 1
		.amdhsa_user_sgpr_dispatch_ptr 0
		.amdhsa_user_sgpr_queue_ptr 0
		.amdhsa_user_sgpr_kernarg_segment_ptr 1
		.amdhsa_user_sgpr_dispatch_id 0
		.amdhsa_user_sgpr_flat_scratch_init 0
		.amdhsa_user_sgpr_private_segment_size 0
		.amdhsa_uses_dynamic_stack 0
		.amdhsa_system_sgpr_private_segment_wavefront_offset 0
		.amdhsa_system_sgpr_workgroup_id_x 1
		.amdhsa_system_sgpr_workgroup_id_y 0
		.amdhsa_system_sgpr_workgroup_id_z 0
		.amdhsa_system_sgpr_workgroup_info 0
		.amdhsa_system_vgpr_workitem_id 0
		.amdhsa_next_free_vgpr 1
		.amdhsa_next_free_sgpr 0
		.amdhsa_reserve_vcc 0
		.amdhsa_reserve_flat_scratch 0
		.amdhsa_float_round_mode_32 0
		.amdhsa_float_round_mode_16_64 0
		.amdhsa_float_denorm_mode_32 3
		.amdhsa_float_denorm_mode_16_64 3
		.amdhsa_dx10_clamp 1
		.amdhsa_ieee_mode 1
		.amdhsa_fp16_overflow 0
		.amdhsa_exception_fp_ieee_invalid_op 0
		.amdhsa_exception_fp_denorm_src 0
		.amdhsa_exception_fp_ieee_div_zero 0
		.amdhsa_exception_fp_ieee_overflow 0
		.amdhsa_exception_fp_ieee_underflow 0
		.amdhsa_exception_fp_ieee_inexact 0
		.amdhsa_exception_int_div_zero 0
	.end_amdhsa_kernel
	.section	.text._ZL26rocblas_sger_gfx942_kernelILi256EffPKfPfEviiT1_lT2_lllS4_lllT3_lll,"axG",@progbits,_ZL26rocblas_sger_gfx942_kernelILi256EffPKfPfEviiT1_lT2_lllS4_lllT3_lll,comdat
.Lfunc_end2:
	.size	_ZL26rocblas_sger_gfx942_kernelILi256EffPKfPfEviiT1_lT2_lllS4_lllT3_lll, .Lfunc_end2-_ZL26rocblas_sger_gfx942_kernelILi256EffPKfPfEviiT1_lT2_lllS4_lllT3_lll
                                        ; -- End function
	.set _ZL26rocblas_sger_gfx942_kernelILi256EffPKfPfEviiT1_lT2_lllS4_lllT3_lll.num_vgpr, 0
	.set _ZL26rocblas_sger_gfx942_kernelILi256EffPKfPfEviiT1_lT2_lllS4_lllT3_lll.num_agpr, 0
	.set _ZL26rocblas_sger_gfx942_kernelILi256EffPKfPfEviiT1_lT2_lllS4_lllT3_lll.numbered_sgpr, 0
	.set _ZL26rocblas_sger_gfx942_kernelILi256EffPKfPfEviiT1_lT2_lllS4_lllT3_lll.num_named_barrier, 0
	.set _ZL26rocblas_sger_gfx942_kernelILi256EffPKfPfEviiT1_lT2_lllS4_lllT3_lll.private_seg_size, 0
	.set _ZL26rocblas_sger_gfx942_kernelILi256EffPKfPfEviiT1_lT2_lllS4_lllT3_lll.uses_vcc, 0
	.set _ZL26rocblas_sger_gfx942_kernelILi256EffPKfPfEviiT1_lT2_lllS4_lllT3_lll.uses_flat_scratch, 0
	.set _ZL26rocblas_sger_gfx942_kernelILi256EffPKfPfEviiT1_lT2_lllS4_lllT3_lll.has_dyn_sized_stack, 0
	.set _ZL26rocblas_sger_gfx942_kernelILi256EffPKfPfEviiT1_lT2_lllS4_lllT3_lll.has_recursion, 0
	.set _ZL26rocblas_sger_gfx942_kernelILi256EffPKfPfEviiT1_lT2_lllS4_lllT3_lll.has_indirect_call, 0
	.section	.AMDGPU.csdata,"",@progbits
; Kernel info:
; codeLenInByte = 4
; TotalNumSgprs: 4
; NumVgprs: 0
; ScratchSize: 0
; MemoryBound: 0
; FloatMode: 240
; IeeeMode: 1
; LDSByteSize: 0 bytes/workgroup (compile time only)
; SGPRBlocks: 0
; VGPRBlocks: 0
; NumSGPRsForWavesPerEU: 4
; NumVGPRsForWavesPerEU: 1
; Occupancy: 10
; WaveLimiterHint : 0
; COMPUTE_PGM_RSRC2:SCRATCH_EN: 0
; COMPUTE_PGM_RSRC2:USER_SGPR: 6
; COMPUTE_PGM_RSRC2:TRAP_HANDLER: 0
; COMPUTE_PGM_RSRC2:TGID_X_EN: 1
; COMPUTE_PGM_RSRC2:TGID_Y_EN: 0
; COMPUTE_PGM_RSRC2:TGID_Z_EN: 0
; COMPUTE_PGM_RSRC2:TIDIG_COMP_CNT: 0
	.section	.text._ZL19rocblas_sger_kernelILi1024EfPKfS1_PfEviiT1_lT2_lllS4_lllT3_lmli,"axG",@progbits,_ZL19rocblas_sger_kernelILi1024EfPKfS1_PfEviiT1_lT2_lllS4_lllT3_lmli,comdat
	.globl	_ZL19rocblas_sger_kernelILi1024EfPKfS1_PfEviiT1_lT2_lllS4_lllT3_lmli ; -- Begin function _ZL19rocblas_sger_kernelILi1024EfPKfS1_PfEviiT1_lT2_lllS4_lllT3_lmli
	.p2align	8
	.type	_ZL19rocblas_sger_kernelILi1024EfPKfS1_PfEviiT1_lT2_lllS4_lllT3_lmli,@function
_ZL19rocblas_sger_kernelILi1024EfPKfS1_PfEviiT1_lT2_lllS4_lllT3_lmli: ; @_ZL19rocblas_sger_kernelILi1024EfPKfS1_PfEviiT1_lT2_lllS4_lllT3_lmli
; %bb.0:
	s_load_dwordx4 s[0:3], s[4:5], 0x8
	s_waitcnt lgkmcnt(0)
	s_mul_i32 s3, s3, s7
	s_mul_hi_u32 s8, s2, s7
	s_add_i32 s3, s8, s3
	s_mul_i32 s2, s2, s7
	s_lshl_b64 s[2:3], s[2:3], 2
	s_add_u32 s0, s0, s2
	s_addc_u32 s1, s1, s3
	s_load_dword s27, s[0:1], 0x0
	s_waitcnt lgkmcnt(0)
	v_cmp_eq_f32_e64 s[0:1], s27, 0
	s_and_b64 vcc, exec, s[0:1]
	s_cbranch_vccnz .LBB3_4
; %bb.1:
	s_load_dword s26, s[4:5], 0x0
	s_waitcnt lgkmcnt(0)
	v_cmp_gt_i32_e32 vcc, s26, v0
	s_and_saveexec_b64 s[0:1], vcc
	s_cbranch_execz .LBB3_4
; %bb.2:
	s_load_dwordx8 s[16:23], s[4:5], 0x50
	s_load_dwordx8 s[8:15], s[4:5], 0x30
	s_load_dwordx2 s[24:25], s[4:5], 0x18
	s_load_dwordx4 s[0:3], s[4:5], 0x20
	s_load_dwordx2 s[28:29], s[4:5], 0x70
	s_waitcnt lgkmcnt(0)
	s_mul_i32 s4, s17, s7
	s_mul_hi_u32 s5, s16, s7
	s_add_i32 s5, s5, s4
	s_mul_i32 s4, s16, s7
	s_lshl_b64 s[4:5], s[4:5], 2
	s_add_u32 s10, s10, s4
	s_addc_u32 s11, s11, s5
	s_lshl_b64 s[4:5], s[12:13], 2
	s_add_u32 s12, s10, s4
	s_addc_u32 s13, s11, s5
	s_mul_i32 s4, s29, s7
	s_mul_hi_u32 s5, s28, s7
	s_add_i32 s5, s5, s4
	s_mul_i32 s4, s28, s7
	s_lshl_b64 s[4:5], s[4:5], 2
	s_add_u32 s10, s18, s4
	s_addc_u32 s11, s19, s5
	s_lshl_b64 s[4:5], s[20:21], 2
	s_add_u32 s4, s10, s4
	v_cndmask_b32_e32 v1, 0, v0, vcc
	s_addc_u32 s5, s11, s5
	v_lshlrev_b32_e32 v1, 2, v1
	s_ashr_i32 s10, s6, 31
	v_mov_b32_e32 v2, s5
	v_add_co_u32_e32 v1, vcc, s4, v1
	s_mul_hi_u32 s4, s22, s6
	s_mul_i32 s5, s22, s10
	s_add_i32 s4, s4, s5
	s_mul_i32 s5, s23, s6
	s_add_i32 s5, s4, s5
	s_mul_i32 s4, s22, s6
	s_lshl_b64 s[4:5], s[4:5], 2
	v_mov_b32_e32 v3, s5
	s_mul_hi_u32 s5, s14, s6
	s_mul_i32 s10, s14, s10
	s_add_i32 s5, s5, s10
	s_mul_i32 s10, s15, s6
	s_add_i32 s11, s5, s10
	s_mul_i32 s10, s14, s6
	s_lshl_b64 s[10:11], s[10:11], 2
	s_add_u32 s10, s12, s10
	s_addc_u32 s11, s13, s11
	s_load_dword s5, s[10:11], 0x0
	v_addc_co_u32_e32 v2, vcc, 0, v2, vcc
	v_add_co_u32_e32 v1, vcc, s4, v1
	v_addc_co_u32_e32 v2, vcc, v2, v3, vcc
	s_waitcnt lgkmcnt(0)
	v_mov_b32_e32 v5, s5
	v_mad_u64_u32 v[3:4], s[4:5], s2, v0, 0
	v_mul_f32_e32 v5, s27, v5
	s_mul_i32 s6, s9, s7
	s_mul_hi_u32 s9, s8, s7
	v_mad_u64_u32 v[6:7], s[4:5], s3, v0, v[4:5]
	s_add_i32 s5, s9, s6
	s_mul_i32 s4, s8, s7
	s_lshl_b64 s[4:5], s[4:5], 2
	s_lshl_b64 s[0:1], s[0:1], 2
	s_add_u32 s0, s24, s0
	v_mov_b32_e32 v4, v6
	s_addc_u32 s1, s25, s1
	v_lshlrev_b64 v[3:4], 2, v[3:4]
	s_add_u32 s0, s0, s4
	s_addc_u32 s1, s1, s5
	v_mov_b32_e32 v6, s1
	v_add_co_u32_e32 v3, vcc, s0, v3
	s_lshl_b64 s[0:1], s[2:3], 12
	v_addc_co_u32_e32 v4, vcc, v6, v4, vcc
	s_mov_b64 s[2:3], 0
	v_mov_b32_e32 v6, s1
.LBB3_3:                                ; =>This Inner Loop Header: Depth=1
	global_load_dword v7, v[3:4], off
	global_load_dword v8, v[1:2], off
	v_add_co_u32_e32 v3, vcc, s0, v3
	v_addc_co_u32_e32 v4, vcc, v4, v6, vcc
	v_add_u32_e32 v0, 0x400, v0
	v_cmp_le_i32_e32 vcc, s26, v0
	s_or_b64 s[2:3], vcc, s[2:3]
	s_waitcnt vmcnt(0)
	v_fmac_f32_e32 v8, v5, v7
	global_store_dword v[1:2], v8, off
	v_add_co_u32_e32 v1, vcc, 0x1000, v1
	v_addc_co_u32_e32 v2, vcc, 0, v2, vcc
	s_andn2_b64 exec, exec, s[2:3]
	s_cbranch_execnz .LBB3_3
.LBB3_4:
	s_endpgm
	.section	.rodata,"a",@progbits
	.p2align	6, 0x0
	.amdhsa_kernel _ZL19rocblas_sger_kernelILi1024EfPKfS1_PfEviiT1_lT2_lllS4_lllT3_lmli
		.amdhsa_group_segment_fixed_size 0
		.amdhsa_private_segment_fixed_size 0
		.amdhsa_kernarg_size 124
		.amdhsa_user_sgpr_count 6
		.amdhsa_user_sgpr_private_segment_buffer 1
		.amdhsa_user_sgpr_dispatch_ptr 0
		.amdhsa_user_sgpr_queue_ptr 0
		.amdhsa_user_sgpr_kernarg_segment_ptr 1
		.amdhsa_user_sgpr_dispatch_id 0
		.amdhsa_user_sgpr_flat_scratch_init 0
		.amdhsa_user_sgpr_private_segment_size 0
		.amdhsa_uses_dynamic_stack 0
		.amdhsa_system_sgpr_private_segment_wavefront_offset 0
		.amdhsa_system_sgpr_workgroup_id_x 1
		.amdhsa_system_sgpr_workgroup_id_y 0
		.amdhsa_system_sgpr_workgroup_id_z 1
		.amdhsa_system_sgpr_workgroup_info 0
		.amdhsa_system_vgpr_workitem_id 0
		.amdhsa_next_free_vgpr 9
		.amdhsa_next_free_sgpr 30
		.amdhsa_reserve_vcc 1
		.amdhsa_reserve_flat_scratch 0
		.amdhsa_float_round_mode_32 0
		.amdhsa_float_round_mode_16_64 0
		.amdhsa_float_denorm_mode_32 3
		.amdhsa_float_denorm_mode_16_64 3
		.amdhsa_dx10_clamp 1
		.amdhsa_ieee_mode 1
		.amdhsa_fp16_overflow 0
		.amdhsa_exception_fp_ieee_invalid_op 0
		.amdhsa_exception_fp_denorm_src 0
		.amdhsa_exception_fp_ieee_div_zero 0
		.amdhsa_exception_fp_ieee_overflow 0
		.amdhsa_exception_fp_ieee_underflow 0
		.amdhsa_exception_fp_ieee_inexact 0
		.amdhsa_exception_int_div_zero 0
	.end_amdhsa_kernel
	.section	.text._ZL19rocblas_sger_kernelILi1024EfPKfS1_PfEviiT1_lT2_lllS4_lllT3_lmli,"axG",@progbits,_ZL19rocblas_sger_kernelILi1024EfPKfS1_PfEviiT1_lT2_lllS4_lllT3_lmli,comdat
.Lfunc_end3:
	.size	_ZL19rocblas_sger_kernelILi1024EfPKfS1_PfEviiT1_lT2_lllS4_lllT3_lmli, .Lfunc_end3-_ZL19rocblas_sger_kernelILi1024EfPKfS1_PfEviiT1_lT2_lllS4_lllT3_lmli
                                        ; -- End function
	.set _ZL19rocblas_sger_kernelILi1024EfPKfS1_PfEviiT1_lT2_lllS4_lllT3_lmli.num_vgpr, 9
	.set _ZL19rocblas_sger_kernelILi1024EfPKfS1_PfEviiT1_lT2_lllS4_lllT3_lmli.num_agpr, 0
	.set _ZL19rocblas_sger_kernelILi1024EfPKfS1_PfEviiT1_lT2_lllS4_lllT3_lmli.numbered_sgpr, 30
	.set _ZL19rocblas_sger_kernelILi1024EfPKfS1_PfEviiT1_lT2_lllS4_lllT3_lmli.num_named_barrier, 0
	.set _ZL19rocblas_sger_kernelILi1024EfPKfS1_PfEviiT1_lT2_lllS4_lllT3_lmli.private_seg_size, 0
	.set _ZL19rocblas_sger_kernelILi1024EfPKfS1_PfEviiT1_lT2_lllS4_lllT3_lmli.uses_vcc, 1
	.set _ZL19rocblas_sger_kernelILi1024EfPKfS1_PfEviiT1_lT2_lllS4_lllT3_lmli.uses_flat_scratch, 0
	.set _ZL19rocblas_sger_kernelILi1024EfPKfS1_PfEviiT1_lT2_lllS4_lllT3_lmli.has_dyn_sized_stack, 0
	.set _ZL19rocblas_sger_kernelILi1024EfPKfS1_PfEviiT1_lT2_lllS4_lllT3_lmli.has_recursion, 0
	.set _ZL19rocblas_sger_kernelILi1024EfPKfS1_PfEviiT1_lT2_lllS4_lllT3_lmli.has_indirect_call, 0
	.section	.AMDGPU.csdata,"",@progbits
; Kernel info:
; codeLenInByte = 508
; TotalNumSgprs: 34
; NumVgprs: 9
; ScratchSize: 0
; MemoryBound: 0
; FloatMode: 240
; IeeeMode: 1
; LDSByteSize: 0 bytes/workgroup (compile time only)
; SGPRBlocks: 4
; VGPRBlocks: 2
; NumSGPRsForWavesPerEU: 34
; NumVGPRsForWavesPerEU: 9
; Occupancy: 10
; WaveLimiterHint : 0
; COMPUTE_PGM_RSRC2:SCRATCH_EN: 0
; COMPUTE_PGM_RSRC2:USER_SGPR: 6
; COMPUTE_PGM_RSRC2:TRAP_HANDLER: 0
; COMPUTE_PGM_RSRC2:TGID_X_EN: 1
; COMPUTE_PGM_RSRC2:TGID_Y_EN: 0
; COMPUTE_PGM_RSRC2:TGID_Z_EN: 1
; COMPUTE_PGM_RSRC2:TIDIG_COMP_CNT: 0
	.section	.text._ZL19rocblas_sger_kernelILi1024EffPKfPfEviiT1_lT2_lllS4_lllT3_lmli,"axG",@progbits,_ZL19rocblas_sger_kernelILi1024EffPKfPfEviiT1_lT2_lllS4_lllT3_lmli,comdat
	.globl	_ZL19rocblas_sger_kernelILi1024EffPKfPfEviiT1_lT2_lllS4_lllT3_lmli ; -- Begin function _ZL19rocblas_sger_kernelILi1024EffPKfPfEviiT1_lT2_lllS4_lllT3_lmli
	.p2align	8
	.type	_ZL19rocblas_sger_kernelILi1024EffPKfPfEviiT1_lT2_lllS4_lllT3_lmli,@function
_ZL19rocblas_sger_kernelILi1024EffPKfPfEviiT1_lT2_lllS4_lllT3_lmli: ; @_ZL19rocblas_sger_kernelILi1024EffPKfPfEviiT1_lT2_lllS4_lllT3_lmli
; %bb.0:
	s_load_dword s27, s[4:5], 0x8
	s_waitcnt lgkmcnt(0)
	v_cmp_eq_f32_e64 s[0:1], s27, 0
	s_and_b64 vcc, exec, s[0:1]
	s_cbranch_vccnz .LBB4_4
; %bb.1:
	s_load_dword s26, s[4:5], 0x0
	s_waitcnt lgkmcnt(0)
	v_cmp_gt_i32_e32 vcc, s26, v0
	s_and_saveexec_b64 s[0:1], vcc
	s_cbranch_execz .LBB4_4
; %bb.2:
	s_load_dwordx8 s[16:23], s[4:5], 0x50
	s_load_dwordx8 s[8:15], s[4:5], 0x30
	s_load_dwordx2 s[24:25], s[4:5], 0x18
	s_load_dwordx4 s[0:3], s[4:5], 0x20
	s_load_dwordx2 s[28:29], s[4:5], 0x70
	s_waitcnt lgkmcnt(0)
	s_mul_i32 s4, s17, s7
	s_mul_hi_u32 s5, s16, s7
	s_add_i32 s5, s5, s4
	s_mul_i32 s4, s16, s7
	s_lshl_b64 s[4:5], s[4:5], 2
	s_add_u32 s10, s10, s4
	s_addc_u32 s11, s11, s5
	s_lshl_b64 s[4:5], s[12:13], 2
	s_add_u32 s12, s10, s4
	s_addc_u32 s13, s11, s5
	s_mul_i32 s4, s29, s7
	s_mul_hi_u32 s5, s28, s7
	s_add_i32 s5, s5, s4
	s_mul_i32 s4, s28, s7
	s_lshl_b64 s[4:5], s[4:5], 2
	s_add_u32 s10, s18, s4
	s_addc_u32 s11, s19, s5
	s_lshl_b64 s[4:5], s[20:21], 2
	s_add_u32 s4, s10, s4
	v_cndmask_b32_e32 v1, 0, v0, vcc
	s_addc_u32 s5, s11, s5
	v_lshlrev_b32_e32 v1, 2, v1
	s_ashr_i32 s10, s6, 31
	v_mov_b32_e32 v2, s5
	v_add_co_u32_e32 v1, vcc, s4, v1
	s_mul_hi_u32 s4, s22, s6
	s_mul_i32 s5, s22, s10
	s_add_i32 s4, s4, s5
	s_mul_i32 s5, s23, s6
	s_add_i32 s5, s4, s5
	s_mul_i32 s4, s22, s6
	s_lshl_b64 s[4:5], s[4:5], 2
	v_mov_b32_e32 v3, s5
	s_mul_hi_u32 s5, s14, s6
	s_mul_i32 s10, s14, s10
	s_add_i32 s5, s5, s10
	s_mul_i32 s10, s15, s6
	s_add_i32 s11, s5, s10
	s_mul_i32 s10, s14, s6
	s_lshl_b64 s[10:11], s[10:11], 2
	s_add_u32 s10, s12, s10
	s_addc_u32 s11, s13, s11
	s_load_dword s5, s[10:11], 0x0
	v_addc_co_u32_e32 v2, vcc, 0, v2, vcc
	v_add_co_u32_e32 v1, vcc, s4, v1
	v_addc_co_u32_e32 v2, vcc, v2, v3, vcc
	s_waitcnt lgkmcnt(0)
	v_mov_b32_e32 v5, s5
	v_mad_u64_u32 v[3:4], s[4:5], s2, v0, 0
	v_mul_f32_e32 v5, s27, v5
	s_mul_i32 s6, s9, s7
	s_mul_hi_u32 s9, s8, s7
	v_mad_u64_u32 v[6:7], s[4:5], s3, v0, v[4:5]
	s_add_i32 s5, s9, s6
	s_mul_i32 s4, s8, s7
	s_lshl_b64 s[4:5], s[4:5], 2
	s_lshl_b64 s[0:1], s[0:1], 2
	s_add_u32 s0, s24, s0
	v_mov_b32_e32 v4, v6
	s_addc_u32 s1, s25, s1
	v_lshlrev_b64 v[3:4], 2, v[3:4]
	s_add_u32 s0, s0, s4
	s_addc_u32 s1, s1, s5
	v_mov_b32_e32 v6, s1
	v_add_co_u32_e32 v3, vcc, s0, v3
	s_lshl_b64 s[0:1], s[2:3], 12
	v_addc_co_u32_e32 v4, vcc, v6, v4, vcc
	s_mov_b64 s[2:3], 0
	v_mov_b32_e32 v6, s1
.LBB4_3:                                ; =>This Inner Loop Header: Depth=1
	global_load_dword v7, v[3:4], off
	global_load_dword v8, v[1:2], off
	v_add_co_u32_e32 v3, vcc, s0, v3
	v_addc_co_u32_e32 v4, vcc, v4, v6, vcc
	v_add_u32_e32 v0, 0x400, v0
	v_cmp_le_i32_e32 vcc, s26, v0
	s_or_b64 s[2:3], vcc, s[2:3]
	s_waitcnt vmcnt(0)
	v_fmac_f32_e32 v8, v5, v7
	global_store_dword v[1:2], v8, off
	v_add_co_u32_e32 v1, vcc, 0x1000, v1
	v_addc_co_u32_e32 v2, vcc, 0, v2, vcc
	s_andn2_b64 exec, exec, s[2:3]
	s_cbranch_execnz .LBB4_3
.LBB4_4:
	s_endpgm
	.section	.rodata,"a",@progbits
	.p2align	6, 0x0
	.amdhsa_kernel _ZL19rocblas_sger_kernelILi1024EffPKfPfEviiT1_lT2_lllS4_lllT3_lmli
		.amdhsa_group_segment_fixed_size 0
		.amdhsa_private_segment_fixed_size 0
		.amdhsa_kernarg_size 124
		.amdhsa_user_sgpr_count 6
		.amdhsa_user_sgpr_private_segment_buffer 1
		.amdhsa_user_sgpr_dispatch_ptr 0
		.amdhsa_user_sgpr_queue_ptr 0
		.amdhsa_user_sgpr_kernarg_segment_ptr 1
		.amdhsa_user_sgpr_dispatch_id 0
		.amdhsa_user_sgpr_flat_scratch_init 0
		.amdhsa_user_sgpr_private_segment_size 0
		.amdhsa_uses_dynamic_stack 0
		.amdhsa_system_sgpr_private_segment_wavefront_offset 0
		.amdhsa_system_sgpr_workgroup_id_x 1
		.amdhsa_system_sgpr_workgroup_id_y 0
		.amdhsa_system_sgpr_workgroup_id_z 1
		.amdhsa_system_sgpr_workgroup_info 0
		.amdhsa_system_vgpr_workitem_id 0
		.amdhsa_next_free_vgpr 9
		.amdhsa_next_free_sgpr 30
		.amdhsa_reserve_vcc 1
		.amdhsa_reserve_flat_scratch 0
		.amdhsa_float_round_mode_32 0
		.amdhsa_float_round_mode_16_64 0
		.amdhsa_float_denorm_mode_32 3
		.amdhsa_float_denorm_mode_16_64 3
		.amdhsa_dx10_clamp 1
		.amdhsa_ieee_mode 1
		.amdhsa_fp16_overflow 0
		.amdhsa_exception_fp_ieee_invalid_op 0
		.amdhsa_exception_fp_denorm_src 0
		.amdhsa_exception_fp_ieee_div_zero 0
		.amdhsa_exception_fp_ieee_overflow 0
		.amdhsa_exception_fp_ieee_underflow 0
		.amdhsa_exception_fp_ieee_inexact 0
		.amdhsa_exception_int_div_zero 0
	.end_amdhsa_kernel
	.section	.text._ZL19rocblas_sger_kernelILi1024EffPKfPfEviiT1_lT2_lllS4_lllT3_lmli,"axG",@progbits,_ZL19rocblas_sger_kernelILi1024EffPKfPfEviiT1_lT2_lllS4_lllT3_lmli,comdat
.Lfunc_end4:
	.size	_ZL19rocblas_sger_kernelILi1024EffPKfPfEviiT1_lT2_lllS4_lllT3_lmli, .Lfunc_end4-_ZL19rocblas_sger_kernelILi1024EffPKfPfEviiT1_lT2_lllS4_lllT3_lmli
                                        ; -- End function
	.set _ZL19rocblas_sger_kernelILi1024EffPKfPfEviiT1_lT2_lllS4_lllT3_lmli.num_vgpr, 9
	.set _ZL19rocblas_sger_kernelILi1024EffPKfPfEviiT1_lT2_lllS4_lllT3_lmli.num_agpr, 0
	.set _ZL19rocblas_sger_kernelILi1024EffPKfPfEviiT1_lT2_lllS4_lllT3_lmli.numbered_sgpr, 30
	.set _ZL19rocblas_sger_kernelILi1024EffPKfPfEviiT1_lT2_lllS4_lllT3_lmli.num_named_barrier, 0
	.set _ZL19rocblas_sger_kernelILi1024EffPKfPfEviiT1_lT2_lllS4_lllT3_lmli.private_seg_size, 0
	.set _ZL19rocblas_sger_kernelILi1024EffPKfPfEviiT1_lT2_lllS4_lllT3_lmli.uses_vcc, 1
	.set _ZL19rocblas_sger_kernelILi1024EffPKfPfEviiT1_lT2_lllS4_lllT3_lmli.uses_flat_scratch, 0
	.set _ZL19rocblas_sger_kernelILi1024EffPKfPfEviiT1_lT2_lllS4_lllT3_lmli.has_dyn_sized_stack, 0
	.set _ZL19rocblas_sger_kernelILi1024EffPKfPfEviiT1_lT2_lllS4_lllT3_lmli.has_recursion, 0
	.set _ZL19rocblas_sger_kernelILi1024EffPKfPfEviiT1_lT2_lllS4_lllT3_lmli.has_indirect_call, 0
	.section	.AMDGPU.csdata,"",@progbits
; Kernel info:
; codeLenInByte = 468
; TotalNumSgprs: 34
; NumVgprs: 9
; ScratchSize: 0
; MemoryBound: 0
; FloatMode: 240
; IeeeMode: 1
; LDSByteSize: 0 bytes/workgroup (compile time only)
; SGPRBlocks: 4
; VGPRBlocks: 2
; NumSGPRsForWavesPerEU: 34
; NumVGPRsForWavesPerEU: 9
; Occupancy: 10
; WaveLimiterHint : 0
; COMPUTE_PGM_RSRC2:SCRATCH_EN: 0
; COMPUTE_PGM_RSRC2:USER_SGPR: 6
; COMPUTE_PGM_RSRC2:TRAP_HANDLER: 0
; COMPUTE_PGM_RSRC2:TGID_X_EN: 1
; COMPUTE_PGM_RSRC2:TGID_Y_EN: 0
; COMPUTE_PGM_RSRC2:TGID_Z_EN: 1
; COMPUTE_PGM_RSRC2:TIDIG_COMP_CNT: 0
	.section	.text._ZL18rocblas_ger_kernelILi32ELi32ELi2ELb0EfPKfS1_PfEviiT4_lT5_lllS4_lllT6_lmli,"axG",@progbits,_ZL18rocblas_ger_kernelILi32ELi32ELi2ELb0EfPKfS1_PfEviiT4_lT5_lllS4_lllT6_lmli,comdat
	.globl	_ZL18rocblas_ger_kernelILi32ELi32ELi2ELb0EfPKfS1_PfEviiT4_lT5_lllS4_lllT6_lmli ; -- Begin function _ZL18rocblas_ger_kernelILi32ELi32ELi2ELb0EfPKfS1_PfEviiT4_lT5_lllS4_lllT6_lmli
	.p2align	8
	.type	_ZL18rocblas_ger_kernelILi32ELi32ELi2ELb0EfPKfS1_PfEviiT4_lT5_lllS4_lllT6_lmli,@function
_ZL18rocblas_ger_kernelILi32ELi32ELi2ELb0EfPKfS1_PfEviiT4_lT5_lllS4_lllT6_lmli: ; @_ZL18rocblas_ger_kernelILi32ELi32ELi2ELb0EfPKfS1_PfEviiT4_lT5_lllS4_lllT6_lmli
; %bb.0:
	s_load_dwordx2 s[8:9], s[4:5], 0x0
	s_load_dwordx4 s[12:15], s[4:5], 0x8
	s_waitcnt lgkmcnt(0)
	s_add_i32 s0, s8, -1
	s_ashr_i32 s1, s0, 31
	s_lshr_b32 s1, s1, 27
	s_add_i32 s0, s0, s1
	s_ashr_i32 s3, s0, 5
	s_add_i32 s2, s3, 1
	v_cvt_f32_u32_e32 v2, s2
	s_mul_i32 s1, s15, s7
	s_mul_hi_u32 s10, s14, s7
	s_mul_i32 s0, s14, s7
	s_add_i32 s1, s10, s1
	v_rcp_iflag_f32_e32 v2, v2
	s_lshl_b64 s[0:1], s[0:1], 2
	s_add_u32 s0, s12, s0
	s_addc_u32 s1, s13, s1
	s_load_dword s14, s[0:1], 0x0
	v_mul_f32_e32 v2, 0x4f7ffffe, v2
	v_cvt_u32_f32_e32 v2, v2
	s_waitcnt lgkmcnt(0)
	v_cmp_eq_f32_e64 s[0:1], s14, 0
	v_readfirstlane_b32 s12, v2
	s_and_b64 vcc, exec, s[0:1]
	s_cbranch_vccnz .LBB5_14
; %bb.1:
	s_not_b32 s3, s3
	s_mul_i32 s3, s3, s12
	s_mul_hi_u32 s3, s12, s3
	s_add_i32 s12, s12, s3
	s_mul_hi_u32 s3, s6, s12
	s_mul_i32 s12, s3, s2
	s_sub_i32 s12, s6, s12
	s_add_i32 s13, s3, 1
	s_sub_i32 s15, s12, s2
	s_cmp_ge_u32 s12, s2
	s_cselect_b32 s3, s13, s3
	s_cselect_b32 s12, s15, s12
	s_add_i32 s13, s3, 1
	s_load_dwordx2 s[10:11], s[4:5], 0x58
	s_load_dwordx2 s[0:1], s[4:5], 0x38
	s_cmp_ge_u32 s12, s2
	s_cselect_b32 s15, s13, s3
	s_mul_i32 s2, s15, s2
	s_sub_i32 s2, s6, s2
	v_lshl_add_u32 v2, s2, 5, v0
	v_cmp_eq_u32_e32 vcc, 0, v1
	s_and_saveexec_b64 s[2:3], vcc
	s_cbranch_execz .LBB5_5
; %bb.2:
	v_cmp_gt_i32_e32 vcc, s8, v2
	v_mov_b32_e32 v3, 0
	s_and_saveexec_b64 s[12:13], vcc
	s_cbranch_execz .LBB5_4
; %bb.3:
	s_load_dwordx2 s[20:21], s[4:5], 0x30
	s_load_dwordx2 s[22:23], s[4:5], 0x18
	s_load_dwordx4 s[16:19], s[4:5], 0x20
	v_ashrrev_i32_e32 v3, 31, v2
	s_waitcnt lgkmcnt(0)
	s_mul_i32 s6, s21, s7
	s_mul_hi_u32 s21, s20, s7
	v_mul_lo_u32 v5, s19, v2
	v_mul_lo_u32 v6, s18, v3
	v_mad_u64_u32 v[3:4], s[18:19], s18, v2, 0
	s_mul_i32 s20, s20, s7
	s_add_i32 s21, s21, s6
	s_lshl_b64 s[20:21], s[20:21], 2
	s_add_u32 s6, s22, s20
	s_addc_u32 s20, s23, s21
	s_lshl_b64 s[16:17], s[16:17], 2
	v_add3_u32 v4, v4, v6, v5
	s_add_u32 s6, s6, s16
	v_lshlrev_b64 v[3:4], 2, v[3:4]
	s_addc_u32 s16, s20, s17
	v_mov_b32_e32 v5, s16
	v_add_co_u32_e32 v3, vcc, s6, v3
	v_addc_co_u32_e32 v4, vcc, v5, v4, vcc
	global_load_dword v3, v[3:4], off
.LBB5_4:
	s_or_b64 exec, exec, s[12:13]
	v_lshlrev_b32_e32 v4, 2, v0
	s_waitcnt vmcnt(0)
	ds_write_b32 v4, v3 offset:256
.LBB5_5:
	s_or_b64 exec, exec, s[2:3]
	v_lshlrev_b32_e32 v3, 1, v1
	v_lshl_add_u32 v1, s15, 6, v3
	v_cmp_gt_u32_e32 vcc, 2, v0
	s_and_saveexec_b64 s[2:3], vcc
	s_cbranch_execz .LBB5_9
; %bb.6:
	v_or_b32_e32 v4, v1, v0
	v_cmp_gt_u32_e32 vcc, s9, v4
	v_mov_b32_e32 v5, 0
	s_and_saveexec_b64 s[12:13], vcc
	s_cbranch_execz .LBB5_8
; %bb.7:
	s_load_dwordx2 s[20:21], s[4:5], 0x50
	s_load_dwordx4 s[16:19], s[4:5], 0x40
	s_waitcnt lgkmcnt(0)
	s_mul_i32 s6, s21, s7
	s_mul_hi_u32 s15, s20, s7
	v_mad_u64_u32 v[5:6], s[22:23], s18, v4, 0
	s_mul_i32 s20, s20, s7
	s_add_i32 s21, s15, s6
	s_lshl_b64 s[20:21], s[20:21], 2
	s_add_u32 s6, s0, s20
	s_addc_u32 s15, s1, s21
	v_mad_u64_u32 v[6:7], s[0:1], s19, v4, v[6:7]
	s_lshl_b64 s[0:1], s[16:17], 2
	s_add_u32 s0, s6, s0
	v_lshlrev_b64 v[4:5], 2, v[5:6]
	s_addc_u32 s1, s15, s1
	v_mov_b32_e32 v6, s1
	v_add_co_u32_e32 v4, vcc, s0, v4
	v_addc_co_u32_e32 v5, vcc, v6, v5, vcc
	global_load_dword v5, v[4:5], off
.LBB5_8:
	s_or_b64 exec, exec, s[12:13]
	v_lshlrev_b32_e32 v4, 2, v0
	v_lshl_add_u32 v4, v3, 2, v4
	s_waitcnt vmcnt(0)
	ds_write_b32 v4, v5
.LBB5_9:
	s_or_b64 exec, exec, s[2:3]
	v_cmp_gt_i32_e32 vcc, s8, v2
	s_waitcnt lgkmcnt(0)
	s_barrier
	s_and_saveexec_b64 s[0:1], vcc
	s_cbranch_execz .LBB5_14
; %bb.10:
	s_load_dwordx2 s[12:13], s[4:5], 0x70
	s_load_dwordx4 s[0:3], s[4:5], 0x60
	v_lshlrev_b32_e32 v0, 2, v0
	ds_read_b32 v0, v0 offset:256
	v_lshlrev_b32_e32 v4, 2, v3
	s_waitcnt lgkmcnt(0)
	s_mul_i32 s5, s13, s7
	s_mul_hi_u32 s6, s12, s7
	s_mul_i32 s4, s12, s7
	s_add_i32 s5, s6, s5
	s_lshl_b64 s[4:5], s[4:5], 2
	s_add_u32 s4, s10, s4
	s_addc_u32 s5, s11, s5
	s_lshl_b64 s[0:1], s[0:1], 2
	v_ashrrev_i32_e32 v3, 31, v2
	s_add_u32 s0, s4, s0
	v_lshlrev_b64 v[2:3], 2, v[2:3]
	s_addc_u32 s1, s5, s1
	v_mov_b32_e32 v5, s1
	v_add_co_u32_e32 v2, vcc, s0, v2
	v_addc_co_u32_e32 v3, vcc, v5, v3, vcc
	v_mul_f32_e32 v0, s14, v0
	v_cmp_gt_i32_e32 vcc, s9, v1
	s_and_saveexec_b64 s[0:1], vcc
	s_cbranch_execz .LBB5_12
; %bb.11:
	v_ashrrev_i32_e32 v7, 31, v1
	v_mul_lo_u32 v8, s3, v1
	v_mad_u64_u32 v[5:6], s[4:5], s2, v1, 0
	v_mul_lo_u32 v7, s2, v7
	v_add3_u32 v6, v6, v7, v8
	v_lshlrev_b64 v[5:6], 2, v[5:6]
	ds_read_b32 v8, v4
	v_add_co_u32_e32 v5, vcc, v2, v5
	v_addc_co_u32_e32 v6, vcc, v3, v6, vcc
	global_load_dword v7, v[5:6], off
	s_waitcnt vmcnt(0) lgkmcnt(0)
	v_fmac_f32_e32 v7, v0, v8
	global_store_dword v[5:6], v7, off
.LBB5_12:
	s_or_b64 exec, exec, s[0:1]
	v_or_b32_e32 v1, 1, v1
	v_cmp_gt_i32_e32 vcc, s9, v1
	s_and_b64 exec, exec, vcc
	s_cbranch_execz .LBB5_14
; %bb.13:
	v_ashrrev_i32_e32 v7, 31, v1
	v_mul_lo_u32 v8, s3, v1
	v_mad_u64_u32 v[5:6], s[0:1], s2, v1, 0
	v_mul_lo_u32 v1, s2, v7
	ds_read_b32 v4, v4 offset:4
	v_add3_u32 v6, v6, v1, v8
	v_lshlrev_b64 v[5:6], 2, v[5:6]
	v_add_co_u32_e32 v1, vcc, v2, v5
	v_addc_co_u32_e32 v2, vcc, v3, v6, vcc
	global_load_dword v3, v[1:2], off
	s_waitcnt vmcnt(0) lgkmcnt(0)
	v_fmac_f32_e32 v3, v0, v4
	global_store_dword v[1:2], v3, off
.LBB5_14:
	s_endpgm
	.section	.rodata,"a",@progbits
	.p2align	6, 0x0
	.amdhsa_kernel _ZL18rocblas_ger_kernelILi32ELi32ELi2ELb0EfPKfS1_PfEviiT4_lT5_lllS4_lllT6_lmli
		.amdhsa_group_segment_fixed_size 384
		.amdhsa_private_segment_fixed_size 0
		.amdhsa_kernarg_size 124
		.amdhsa_user_sgpr_count 6
		.amdhsa_user_sgpr_private_segment_buffer 1
		.amdhsa_user_sgpr_dispatch_ptr 0
		.amdhsa_user_sgpr_queue_ptr 0
		.amdhsa_user_sgpr_kernarg_segment_ptr 1
		.amdhsa_user_sgpr_dispatch_id 0
		.amdhsa_user_sgpr_flat_scratch_init 0
		.amdhsa_user_sgpr_private_segment_size 0
		.amdhsa_uses_dynamic_stack 0
		.amdhsa_system_sgpr_private_segment_wavefront_offset 0
		.amdhsa_system_sgpr_workgroup_id_x 1
		.amdhsa_system_sgpr_workgroup_id_y 0
		.amdhsa_system_sgpr_workgroup_id_z 1
		.amdhsa_system_sgpr_workgroup_info 0
		.amdhsa_system_vgpr_workitem_id 1
		.amdhsa_next_free_vgpr 9
		.amdhsa_next_free_sgpr 24
		.amdhsa_reserve_vcc 1
		.amdhsa_reserve_flat_scratch 0
		.amdhsa_float_round_mode_32 0
		.amdhsa_float_round_mode_16_64 0
		.amdhsa_float_denorm_mode_32 3
		.amdhsa_float_denorm_mode_16_64 3
		.amdhsa_dx10_clamp 1
		.amdhsa_ieee_mode 1
		.amdhsa_fp16_overflow 0
		.amdhsa_exception_fp_ieee_invalid_op 0
		.amdhsa_exception_fp_denorm_src 0
		.amdhsa_exception_fp_ieee_div_zero 0
		.amdhsa_exception_fp_ieee_overflow 0
		.amdhsa_exception_fp_ieee_underflow 0
		.amdhsa_exception_fp_ieee_inexact 0
		.amdhsa_exception_int_div_zero 0
	.end_amdhsa_kernel
	.section	.text._ZL18rocblas_ger_kernelILi32ELi32ELi2ELb0EfPKfS1_PfEviiT4_lT5_lllS4_lllT6_lmli,"axG",@progbits,_ZL18rocblas_ger_kernelILi32ELi32ELi2ELb0EfPKfS1_PfEviiT4_lT5_lllS4_lllT6_lmli,comdat
.Lfunc_end5:
	.size	_ZL18rocblas_ger_kernelILi32ELi32ELi2ELb0EfPKfS1_PfEviiT4_lT5_lllS4_lllT6_lmli, .Lfunc_end5-_ZL18rocblas_ger_kernelILi32ELi32ELi2ELb0EfPKfS1_PfEviiT4_lT5_lllS4_lllT6_lmli
                                        ; -- End function
	.set _ZL18rocblas_ger_kernelILi32ELi32ELi2ELb0EfPKfS1_PfEviiT4_lT5_lllS4_lllT6_lmli.num_vgpr, 9
	.set _ZL18rocblas_ger_kernelILi32ELi32ELi2ELb0EfPKfS1_PfEviiT4_lT5_lllS4_lllT6_lmli.num_agpr, 0
	.set _ZL18rocblas_ger_kernelILi32ELi32ELi2ELb0EfPKfS1_PfEviiT4_lT5_lllS4_lllT6_lmli.numbered_sgpr, 24
	.set _ZL18rocblas_ger_kernelILi32ELi32ELi2ELb0EfPKfS1_PfEviiT4_lT5_lllS4_lllT6_lmli.num_named_barrier, 0
	.set _ZL18rocblas_ger_kernelILi32ELi32ELi2ELb0EfPKfS1_PfEviiT4_lT5_lllS4_lllT6_lmli.private_seg_size, 0
	.set _ZL18rocblas_ger_kernelILi32ELi32ELi2ELb0EfPKfS1_PfEviiT4_lT5_lllS4_lllT6_lmli.uses_vcc, 1
	.set _ZL18rocblas_ger_kernelILi32ELi32ELi2ELb0EfPKfS1_PfEviiT4_lT5_lllS4_lllT6_lmli.uses_flat_scratch, 0
	.set _ZL18rocblas_ger_kernelILi32ELi32ELi2ELb0EfPKfS1_PfEviiT4_lT5_lllS4_lllT6_lmli.has_dyn_sized_stack, 0
	.set _ZL18rocblas_ger_kernelILi32ELi32ELi2ELb0EfPKfS1_PfEviiT4_lT5_lllS4_lllT6_lmli.has_recursion, 0
	.set _ZL18rocblas_ger_kernelILi32ELi32ELi2ELb0EfPKfS1_PfEviiT4_lT5_lllS4_lllT6_lmli.has_indirect_call, 0
	.section	.AMDGPU.csdata,"",@progbits
; Kernel info:
; codeLenInByte = 908
; TotalNumSgprs: 28
; NumVgprs: 9
; ScratchSize: 0
; MemoryBound: 0
; FloatMode: 240
; IeeeMode: 1
; LDSByteSize: 384 bytes/workgroup (compile time only)
; SGPRBlocks: 3
; VGPRBlocks: 2
; NumSGPRsForWavesPerEU: 28
; NumVGPRsForWavesPerEU: 9
; Occupancy: 10
; WaveLimiterHint : 0
; COMPUTE_PGM_RSRC2:SCRATCH_EN: 0
; COMPUTE_PGM_RSRC2:USER_SGPR: 6
; COMPUTE_PGM_RSRC2:TRAP_HANDLER: 0
; COMPUTE_PGM_RSRC2:TGID_X_EN: 1
; COMPUTE_PGM_RSRC2:TGID_Y_EN: 0
; COMPUTE_PGM_RSRC2:TGID_Z_EN: 1
; COMPUTE_PGM_RSRC2:TIDIG_COMP_CNT: 1
	.section	.text._ZL18rocblas_ger_kernelILi32ELi32ELi2ELb0EffPKfPfEviiT4_lT5_lllS4_lllT6_lmli,"axG",@progbits,_ZL18rocblas_ger_kernelILi32ELi32ELi2ELb0EffPKfPfEviiT4_lT5_lllS4_lllT6_lmli,comdat
	.globl	_ZL18rocblas_ger_kernelILi32ELi32ELi2ELb0EffPKfPfEviiT4_lT5_lllS4_lllT6_lmli ; -- Begin function _ZL18rocblas_ger_kernelILi32ELi32ELi2ELb0EffPKfPfEviiT4_lT5_lllS4_lllT6_lmli
	.p2align	8
	.type	_ZL18rocblas_ger_kernelILi32ELi32ELi2ELb0EffPKfPfEviiT4_lT5_lllS4_lllT6_lmli,@function
_ZL18rocblas_ger_kernelILi32ELi32ELi2ELb0EffPKfPfEviiT4_lT5_lllS4_lllT6_lmli: ; @_ZL18rocblas_ger_kernelILi32ELi32ELi2ELb0EffPKfPfEviiT4_lT5_lllS4_lllT6_lmli
; %bb.0:
	s_load_dwordx4 s[0:3], s[4:5], 0x0
	s_waitcnt lgkmcnt(0)
	s_add_i32 s3, s0, -1
	s_ashr_i32 s8, s3, 31
	s_lshr_b32 s8, s8, 27
	s_add_i32 s3, s3, s8
	s_ashr_i32 s3, s3, 5
	s_add_i32 s10, s3, 1
	v_cvt_f32_u32_e32 v2, s10
	v_cmp_eq_f32_e64 s[8:9], s2, 0
	s_and_b64 vcc, exec, s[8:9]
	v_rcp_iflag_f32_e32 v2, v2
	v_mul_f32_e32 v2, 0x4f7ffffe, v2
	v_cvt_u32_f32_e32 v2, v2
	v_readfirstlane_b32 s11, v2
	s_cbranch_vccnz .LBB6_14
; %bb.1:
	s_not_b32 s3, s3
	s_mul_i32 s3, s3, s11
	s_mul_hi_u32 s3, s11, s3
	s_add_i32 s11, s11, s3
	s_mul_hi_u32 s3, s6, s11
	s_mul_i32 s11, s3, s10
	s_sub_i32 s11, s6, s11
	s_add_i32 s14, s3, 1
	s_sub_i32 s15, s11, s10
	s_cmp_ge_u32 s11, s10
	s_cselect_b32 s3, s14, s3
	s_cselect_b32 s11, s15, s11
	s_add_i32 s14, s3, 1
	s_load_dwordx2 s[12:13], s[4:5], 0x58
	s_load_dwordx2 s[8:9], s[4:5], 0x38
	s_cmp_ge_u32 s11, s10
	s_cselect_b32 s3, s14, s3
	s_mul_i32 s10, s3, s10
	s_sub_i32 s6, s6, s10
	v_lshl_add_u32 v2, s6, 5, v0
	v_cmp_eq_u32_e32 vcc, 0, v1
	s_and_saveexec_b64 s[10:11], vcc
	s_cbranch_execz .LBB6_5
; %bb.2:
	v_cmp_gt_i32_e32 vcc, s0, v2
	v_mov_b32_e32 v3, 0
	s_and_saveexec_b64 s[14:15], vcc
	s_cbranch_execz .LBB6_4
; %bb.3:
	s_load_dwordx2 s[20:21], s[4:5], 0x30
	s_load_dwordx2 s[22:23], s[4:5], 0x18
	s_load_dwordx4 s[16:19], s[4:5], 0x20
	v_ashrrev_i32_e32 v3, 31, v2
	s_waitcnt lgkmcnt(0)
	s_mul_i32 s6, s21, s7
	s_mul_hi_u32 s21, s20, s7
	v_mul_lo_u32 v5, s19, v2
	v_mul_lo_u32 v6, s18, v3
	v_mad_u64_u32 v[3:4], s[18:19], s18, v2, 0
	s_mul_i32 s20, s20, s7
	s_add_i32 s21, s21, s6
	s_lshl_b64 s[20:21], s[20:21], 2
	s_add_u32 s6, s22, s20
	s_addc_u32 s20, s23, s21
	s_lshl_b64 s[16:17], s[16:17], 2
	v_add3_u32 v4, v4, v6, v5
	s_add_u32 s6, s6, s16
	v_lshlrev_b64 v[3:4], 2, v[3:4]
	s_addc_u32 s16, s20, s17
	v_mov_b32_e32 v5, s16
	v_add_co_u32_e32 v3, vcc, s6, v3
	v_addc_co_u32_e32 v4, vcc, v5, v4, vcc
	global_load_dword v3, v[3:4], off
.LBB6_4:
	s_or_b64 exec, exec, s[14:15]
	v_lshlrev_b32_e32 v4, 2, v0
	s_waitcnt vmcnt(0)
	ds_write_b32 v4, v3 offset:256
.LBB6_5:
	s_or_b64 exec, exec, s[10:11]
	v_lshlrev_b32_e32 v3, 1, v1
	v_lshl_add_u32 v1, s3, 6, v3
	v_cmp_gt_u32_e32 vcc, 2, v0
	s_and_saveexec_b64 s[10:11], vcc
	s_cbranch_execz .LBB6_9
; %bb.6:
	v_or_b32_e32 v4, v1, v0
	v_cmp_gt_u32_e32 vcc, s1, v4
	v_mov_b32_e32 v5, 0
	s_and_saveexec_b64 s[14:15], vcc
	s_cbranch_execz .LBB6_8
; %bb.7:
	s_load_dwordx2 s[20:21], s[4:5], 0x50
	s_load_dwordx4 s[16:19], s[4:5], 0x40
	s_waitcnt lgkmcnt(0)
	s_mul_i32 s3, s21, s7
	s_mul_hi_u32 s6, s20, s7
	v_mad_u64_u32 v[5:6], s[22:23], s18, v4, 0
	s_mul_i32 s20, s20, s7
	s_add_i32 s21, s6, s3
	s_lshl_b64 s[20:21], s[20:21], 2
	s_add_u32 s3, s8, s20
	s_addc_u32 s6, s9, s21
	v_mad_u64_u32 v[6:7], s[8:9], s19, v4, v[6:7]
	s_lshl_b64 s[8:9], s[16:17], 2
	s_add_u32 s3, s3, s8
	v_lshlrev_b64 v[4:5], 2, v[5:6]
	s_addc_u32 s6, s6, s9
	v_mov_b32_e32 v6, s6
	v_add_co_u32_e32 v4, vcc, s3, v4
	v_addc_co_u32_e32 v5, vcc, v6, v5, vcc
	global_load_dword v5, v[4:5], off
.LBB6_8:
	s_or_b64 exec, exec, s[14:15]
	v_lshlrev_b32_e32 v4, 2, v0
	v_lshl_add_u32 v4, v3, 2, v4
	s_waitcnt vmcnt(0)
	ds_write_b32 v4, v5
.LBB6_9:
	s_or_b64 exec, exec, s[10:11]
	v_cmp_gt_i32_e32 vcc, s0, v2
	s_waitcnt lgkmcnt(0)
	s_barrier
	s_and_saveexec_b64 s[8:9], vcc
	s_cbranch_execz .LBB6_14
; %bb.10:
	s_load_dwordx2 s[14:15], s[4:5], 0x70
	s_load_dwordx4 s[8:11], s[4:5], 0x60
	v_lshlrev_b32_e32 v0, 2, v0
	ds_read_b32 v0, v0 offset:256
	v_lshlrev_b32_e32 v4, 2, v3
	s_waitcnt lgkmcnt(0)
	s_mul_i32 s0, s15, s7
	s_mul_hi_u32 s3, s14, s7
	s_mul_i32 s4, s14, s7
	s_add_i32 s5, s3, s0
	s_lshl_b64 s[4:5], s[4:5], 2
	s_add_u32 s0, s12, s4
	s_addc_u32 s3, s13, s5
	s_lshl_b64 s[4:5], s[8:9], 2
	v_ashrrev_i32_e32 v3, 31, v2
	s_add_u32 s0, s0, s4
	v_lshlrev_b64 v[2:3], 2, v[2:3]
	s_addc_u32 s3, s3, s5
	v_mov_b32_e32 v5, s3
	v_add_co_u32_e32 v2, vcc, s0, v2
	v_addc_co_u32_e32 v3, vcc, v5, v3, vcc
	v_mul_f32_e32 v0, s2, v0
	v_cmp_gt_i32_e32 vcc, s1, v1
	s_and_saveexec_b64 s[2:3], vcc
	s_cbranch_execz .LBB6_12
; %bb.11:
	v_ashrrev_i32_e32 v7, 31, v1
	v_mul_lo_u32 v8, s11, v1
	v_mad_u64_u32 v[5:6], s[4:5], s10, v1, 0
	v_mul_lo_u32 v7, s10, v7
	v_add3_u32 v6, v6, v7, v8
	v_lshlrev_b64 v[5:6], 2, v[5:6]
	ds_read_b32 v8, v4
	v_add_co_u32_e32 v5, vcc, v2, v5
	v_addc_co_u32_e32 v6, vcc, v3, v6, vcc
	global_load_dword v7, v[5:6], off
	s_waitcnt vmcnt(0) lgkmcnt(0)
	v_fmac_f32_e32 v7, v0, v8
	global_store_dword v[5:6], v7, off
.LBB6_12:
	s_or_b64 exec, exec, s[2:3]
	v_or_b32_e32 v1, 1, v1
	v_cmp_gt_i32_e32 vcc, s1, v1
	s_and_b64 exec, exec, vcc
	s_cbranch_execz .LBB6_14
; %bb.13:
	v_ashrrev_i32_e32 v7, 31, v1
	v_mul_lo_u32 v8, s11, v1
	v_mad_u64_u32 v[5:6], s[0:1], s10, v1, 0
	v_mul_lo_u32 v1, s10, v7
	ds_read_b32 v4, v4 offset:4
	v_add3_u32 v6, v6, v1, v8
	v_lshlrev_b64 v[5:6], 2, v[5:6]
	v_add_co_u32_e32 v1, vcc, v2, v5
	v_addc_co_u32_e32 v2, vcc, v3, v6, vcc
	global_load_dword v3, v[1:2], off
	s_waitcnt vmcnt(0) lgkmcnt(0)
	v_fmac_f32_e32 v3, v0, v4
	global_store_dword v[1:2], v3, off
.LBB6_14:
	s_endpgm
	.section	.rodata,"a",@progbits
	.p2align	6, 0x0
	.amdhsa_kernel _ZL18rocblas_ger_kernelILi32ELi32ELi2ELb0EffPKfPfEviiT4_lT5_lllS4_lllT6_lmli
		.amdhsa_group_segment_fixed_size 384
		.amdhsa_private_segment_fixed_size 0
		.amdhsa_kernarg_size 124
		.amdhsa_user_sgpr_count 6
		.amdhsa_user_sgpr_private_segment_buffer 1
		.amdhsa_user_sgpr_dispatch_ptr 0
		.amdhsa_user_sgpr_queue_ptr 0
		.amdhsa_user_sgpr_kernarg_segment_ptr 1
		.amdhsa_user_sgpr_dispatch_id 0
		.amdhsa_user_sgpr_flat_scratch_init 0
		.amdhsa_user_sgpr_private_segment_size 0
		.amdhsa_uses_dynamic_stack 0
		.amdhsa_system_sgpr_private_segment_wavefront_offset 0
		.amdhsa_system_sgpr_workgroup_id_x 1
		.amdhsa_system_sgpr_workgroup_id_y 0
		.amdhsa_system_sgpr_workgroup_id_z 1
		.amdhsa_system_sgpr_workgroup_info 0
		.amdhsa_system_vgpr_workitem_id 1
		.amdhsa_next_free_vgpr 9
		.amdhsa_next_free_sgpr 24
		.amdhsa_reserve_vcc 1
		.amdhsa_reserve_flat_scratch 0
		.amdhsa_float_round_mode_32 0
		.amdhsa_float_round_mode_16_64 0
		.amdhsa_float_denorm_mode_32 3
		.amdhsa_float_denorm_mode_16_64 3
		.amdhsa_dx10_clamp 1
		.amdhsa_ieee_mode 1
		.amdhsa_fp16_overflow 0
		.amdhsa_exception_fp_ieee_invalid_op 0
		.amdhsa_exception_fp_denorm_src 0
		.amdhsa_exception_fp_ieee_div_zero 0
		.amdhsa_exception_fp_ieee_overflow 0
		.amdhsa_exception_fp_ieee_underflow 0
		.amdhsa_exception_fp_ieee_inexact 0
		.amdhsa_exception_int_div_zero 0
	.end_amdhsa_kernel
	.section	.text._ZL18rocblas_ger_kernelILi32ELi32ELi2ELb0EffPKfPfEviiT4_lT5_lllS4_lllT6_lmli,"axG",@progbits,_ZL18rocblas_ger_kernelILi32ELi32ELi2ELb0EffPKfPfEviiT4_lT5_lllS4_lllT6_lmli,comdat
.Lfunc_end6:
	.size	_ZL18rocblas_ger_kernelILi32ELi32ELi2ELb0EffPKfPfEviiT4_lT5_lllS4_lllT6_lmli, .Lfunc_end6-_ZL18rocblas_ger_kernelILi32ELi32ELi2ELb0EffPKfPfEviiT4_lT5_lllS4_lllT6_lmli
                                        ; -- End function
	.set _ZL18rocblas_ger_kernelILi32ELi32ELi2ELb0EffPKfPfEviiT4_lT5_lllS4_lllT6_lmli.num_vgpr, 9
	.set _ZL18rocblas_ger_kernelILi32ELi32ELi2ELb0EffPKfPfEviiT4_lT5_lllS4_lllT6_lmli.num_agpr, 0
	.set _ZL18rocblas_ger_kernelILi32ELi32ELi2ELb0EffPKfPfEviiT4_lT5_lllS4_lllT6_lmli.numbered_sgpr, 24
	.set _ZL18rocblas_ger_kernelILi32ELi32ELi2ELb0EffPKfPfEviiT4_lT5_lllS4_lllT6_lmli.num_named_barrier, 0
	.set _ZL18rocblas_ger_kernelILi32ELi32ELi2ELb0EffPKfPfEviiT4_lT5_lllS4_lllT6_lmli.private_seg_size, 0
	.set _ZL18rocblas_ger_kernelILi32ELi32ELi2ELb0EffPKfPfEviiT4_lT5_lllS4_lllT6_lmli.uses_vcc, 1
	.set _ZL18rocblas_ger_kernelILi32ELi32ELi2ELb0EffPKfPfEviiT4_lT5_lllS4_lllT6_lmli.uses_flat_scratch, 0
	.set _ZL18rocblas_ger_kernelILi32ELi32ELi2ELb0EffPKfPfEviiT4_lT5_lllS4_lllT6_lmli.has_dyn_sized_stack, 0
	.set _ZL18rocblas_ger_kernelILi32ELi32ELi2ELb0EffPKfPfEviiT4_lT5_lllS4_lllT6_lmli.has_recursion, 0
	.set _ZL18rocblas_ger_kernelILi32ELi32ELi2ELb0EffPKfPfEviiT4_lT5_lllS4_lllT6_lmli.has_indirect_call, 0
	.section	.AMDGPU.csdata,"",@progbits
; Kernel info:
; codeLenInByte = 860
; TotalNumSgprs: 28
; NumVgprs: 9
; ScratchSize: 0
; MemoryBound: 0
; FloatMode: 240
; IeeeMode: 1
; LDSByteSize: 384 bytes/workgroup (compile time only)
; SGPRBlocks: 3
; VGPRBlocks: 2
; NumSGPRsForWavesPerEU: 28
; NumVGPRsForWavesPerEU: 9
; Occupancy: 10
; WaveLimiterHint : 0
; COMPUTE_PGM_RSRC2:SCRATCH_EN: 0
; COMPUTE_PGM_RSRC2:USER_SGPR: 6
; COMPUTE_PGM_RSRC2:TRAP_HANDLER: 0
; COMPUTE_PGM_RSRC2:TGID_X_EN: 1
; COMPUTE_PGM_RSRC2:TGID_Y_EN: 0
; COMPUTE_PGM_RSRC2:TGID_Z_EN: 1
; COMPUTE_PGM_RSRC2:TIDIG_COMP_CNT: 1
	.section	.text._ZL34rocblas_ger_double_buffered_kernelILb0ELi64ELi16ELi2Ed24rocblas_internal_val_ptrIdEPKdPdEvbiiT4_lT5_lllS6_lllT6_lmli,"axG",@progbits,_ZL34rocblas_ger_double_buffered_kernelILb0ELi64ELi16ELi2Ed24rocblas_internal_val_ptrIdEPKdPdEvbiiT4_lT5_lllS6_lllT6_lmli,comdat
	.globl	_ZL34rocblas_ger_double_buffered_kernelILb0ELi64ELi16ELi2Ed24rocblas_internal_val_ptrIdEPKdPdEvbiiT4_lT5_lllS6_lllT6_lmli ; -- Begin function _ZL34rocblas_ger_double_buffered_kernelILb0ELi64ELi16ELi2Ed24rocblas_internal_val_ptrIdEPKdPdEvbiiT4_lT5_lllS6_lllT6_lmli
	.p2align	8
	.type	_ZL34rocblas_ger_double_buffered_kernelILb0ELi64ELi16ELi2Ed24rocblas_internal_val_ptrIdEPKdPdEvbiiT4_lT5_lllS6_lllT6_lmli,@function
_ZL34rocblas_ger_double_buffered_kernelILb0ELi64ELi16ELi2Ed24rocblas_internal_val_ptrIdEPKdPdEvbiiT4_lT5_lllS6_lllT6_lmli: ; @_ZL34rocblas_ger_double_buffered_kernelILb0ELi64ELi16ELi2Ed24rocblas_internal_val_ptrIdEPKdPdEvbiiT4_lT5_lllS6_lllT6_lmli
; %bb.0:
	s_load_dword s9, s[4:5], 0x0
	s_load_dwordx4 s[0:3], s[4:5], 0x10
	s_waitcnt lgkmcnt(0)
	s_bitcmp1_b32 s9, 0
	s_cselect_b64 s[10:11], -1, 0
	v_mov_b32_e32 v3, s1
	s_and_b64 vcc, exec, s[10:11]
	v_mov_b32_e32 v2, s0
	s_cbranch_vccz .LBB7_3
; %bb.1:
	v_cmp_neq_f64_e32 vcc, 0, v[2:3]
	s_and_saveexec_b64 s[0:1], vcc
	s_cbranch_execnz .LBB7_4
.LBB7_2:
	s_endpgm
.LBB7_3:
	s_mul_i32 s3, s3, s8
	s_mul_hi_u32 s9, s2, s8
	s_add_i32 s3, s9, s3
	s_mul_i32 s2, s2, s8
	s_lshl_b64 s[2:3], s[2:3], 3
	s_add_u32 s0, s0, s2
	s_addc_u32 s1, s1, s3
	v_mov_b32_e32 v3, s1
	v_mov_b32_e32 v2, s0
	flat_load_dwordx2 v[2:3], v[2:3]
	s_waitcnt vmcnt(0) lgkmcnt(0)
	v_cmp_neq_f64_e32 vcc, 0, v[2:3]
	s_and_saveexec_b64 s[0:1], vcc
	s_cbranch_execz .LBB7_2
.LBB7_4:
	s_load_dwordx8 s[20:27], s[4:5], 0x58
	s_load_dwordx2 s[10:11], s[4:5], 0x78
	s_load_dwordx8 s[12:19], s[4:5], 0x38
	s_load_dwordx2 s[28:29], s[4:5], 0x20
	s_load_dwordx4 s[0:3], s[4:5], 0x28
	v_and_b32_e32 v4, 31, v0
	s_waitcnt lgkmcnt(0)
	s_mul_i32 s4, s11, s8
	s_mul_hi_u32 s5, s10, s8
	s_add_i32 s5, s5, s4
	s_mul_i32 s4, s10, s8
	s_lshl_b64 s[4:5], s[4:5], 3
	s_add_u32 s9, s22, s4
	s_addc_u32 s10, s23, s5
	s_lshl_b64 s[4:5], s[24:25], 3
	s_add_u32 s9, s9, s4
	s_addc_u32 s10, s10, s5
	s_mul_i32 s4, s21, s8
	s_mul_hi_u32 s5, s20, s8
	s_add_i32 s5, s5, s4
	s_mul_i32 s4, s20, s8
	s_lshl_b64 s[4:5], s[4:5], 3
	s_add_u32 s11, s14, s4
	s_addc_u32 s14, s15, s5
	s_mul_i32 s4, s13, s8
	s_mul_hi_u32 s5, s12, s8
	s_add_i32 s5, s5, s4
	s_mul_i32 s4, s12, s8
	s_lshl_b64 s[4:5], s[4:5], 3
	s_add_u32 s4, s28, s4
	s_addc_u32 s5, s29, s5
	s_lshl_b64 s[0:1], s[0:1], 3
	s_add_u32 s8, s4, s0
	s_addc_u32 s12, s5, s1
	s_lshl_b32 s0, s6, 6
	s_ashr_i32 s1, s0, 31
	s_lshl_b64 s[4:5], s[0:1], 3
	s_add_u32 s6, s9, s4
	s_addc_u32 s9, s10, s5
	s_lshl_b32 s7, s7, 6
	s_ashr_i32 s10, s7, 31
	s_mul_i32 s4, s26, s10
	s_mul_hi_u32 s5, s26, s7
	s_add_i32 s4, s5, s4
	s_mul_i32 s5, s27, s7
	s_add_i32 s5, s4, s5
	s_mul_i32 s4, s26, s7
	s_lshl_b64 s[4:5], s[4:5], 3
	s_add_u32 s6, s6, s4
	s_mul_i32 s1, s2, s1
	s_mul_hi_u32 s4, s2, s0
	s_addc_u32 s9, s9, s5
	s_add_i32 s1, s4, s1
	v_mad_u64_u32 v[5:6], s[4:5], s2, v4, 0
	s_mul_i32 s4, s3, s0
	s_add_i32 s1, s1, s4
	v_mad_u64_u32 v[6:7], s[4:5], s3, v4, v[6:7]
	s_mul_i32 s0, s2, s0
	s_lshl_b64 s[0:1], s[0:1], 3
	s_add_u32 s4, s8, s0
	v_lshlrev_b64 v[5:6], 3, v[5:6]
	s_addc_u32 s5, s12, s1
	v_mov_b32_e32 v7, s5
	v_add_co_u32_e32 v5, vcc, s4, v5
	v_or_b32_e32 v9, 32, v4
	v_addc_co_u32_e32 v6, vcc, v7, v6, vcc
	v_mad_u64_u32 v[7:8], s[0:1], s2, v9, 0
	global_load_dwordx2 v[5:6], v[5:6], off
	v_lshl_add_u32 v0, v1, 6, v0
	v_mad_u64_u32 v[8:9], s[0:1], s3, v9, v[8:9]
	v_mov_b32_e32 v9, s5
	v_lshrrev_b32_e32 v14, 4, v0
	v_lshlrev_b64 v[7:8], 3, v[7:8]
	v_and_b32_e32 v13, 0x1ffe, v14
	v_add_co_u32_e32 v7, vcc, s4, v7
	v_addc_co_u32_e32 v8, vcc, v9, v8, vcc
	global_load_dwordx2 v[7:8], v[7:8], off
	v_mad_u64_u32 v[0:1], s[0:1], s26, v13, 0
	s_mul_i32 s0, s18, s10
	s_mul_hi_u32 s1, s18, s7
	s_add_i32 s2, s1, s0
	v_mad_u64_u32 v[9:10], s[0:1], s27, v13, v[1:2]
	v_lshlrev_b32_e32 v4, 3, v4
	s_mul_i32 s0, s19, s7
	v_mov_b32_e32 v1, v9
	v_lshlrev_b64 v[0:1], 3, v[0:1]
	v_mov_b32_e32 v9, s9
	v_add_co_u32_e32 v0, vcc, s6, v0
	v_addc_co_u32_e32 v1, vcc, v9, v1, vcc
	v_add_co_u32_e32 v0, vcc, v0, v4
	s_add_i32 s1, s2, s0
	v_addc_co_u32_e32 v1, vcc, 0, v1, vcc
	s_lshl_b64 s[2:3], s[26:27], 3
	v_mov_b32_e32 v4, s3
	v_add_co_u32_e32 v9, vcc, s2, v0
	s_lshl_b64 s[2:3], s[16:17], 3
	s_add_u32 s4, s11, s2
	s_addc_u32 s5, s14, s3
	v_mad_u64_u32 v[11:12], s[2:3], s18, v13, 0
	s_mul_i32 s0, s18, s7
	s_lshl_b64 s[0:1], s[0:1], 3
	v_addc_co_u32_e32 v10, vcc, v1, v4, vcc
	s_add_u32 s2, s4, s0
	s_addc_u32 s3, s5, s1
	v_or_b32_e32 v15, 1, v14
	v_mov_b32_e32 v16, s3
	s_waitcnt vmcnt(1)
	v_mul_f64 v[4:5], v[2:3], v[5:6]
	v_mov_b32_e32 v6, v12
	s_waitcnt vmcnt(0)
	v_mad_u64_u32 v[12:13], s[0:1], s19, v13, v[6:7]
	v_mad_u64_u32 v[13:14], s[0:1], s18, v15, 0
	v_lshlrev_b64 v[11:12], 3, v[11:12]
	v_mul_f64 v[2:3], v[2:3], v[7:8]
	v_mov_b32_e32 v6, v14
	v_mad_u64_u32 v[14:15], s[0:1], s19, v15, v[6:7]
	v_add_co_u32_e32 v11, vcc, s2, v11
	v_lshlrev_b64 v[13:14], 3, v[13:14]
	v_addc_co_u32_e32 v12, vcc, v16, v12, vcc
	v_mov_b32_e32 v6, s3
	v_add_co_u32_e32 v13, vcc, s2, v13
	v_addc_co_u32_e32 v14, vcc, v6, v14, vcc
	global_load_dwordx2 v[15:16], v[11:12], off
	global_load_dwordx2 v[17:18], v[13:14], off
	;; [unrolled: 1-line block ×3, first 2 shown]
	s_nop 0
	global_load_dwordx2 v[11:12], v[9:10], off
	global_load_dwordx2 v[13:14], v[9:10], off offset:256
	global_load_dwordx2 v[19:20], v[0:1], off offset:256
	s_waitcnt vmcnt(3)
	v_fma_f64 v[6:7], v[4:5], v[15:16], v[6:7]
	s_waitcnt vmcnt(2)
	v_fma_f64 v[4:5], v[4:5], v[17:18], v[11:12]
	;; [unrolled: 2-line block ×3, first 2 shown]
	v_fma_f64 v[2:3], v[2:3], v[17:18], v[13:14]
	global_store_dwordx2 v[0:1], v[6:7], off
	global_store_dwordx2 v[9:10], v[4:5], off
	global_store_dwordx2 v[0:1], v[11:12], off offset:256
	global_store_dwordx2 v[9:10], v[2:3], off offset:256
	s_endpgm
	.section	.rodata,"a",@progbits
	.p2align	6, 0x0
	.amdhsa_kernel _ZL34rocblas_ger_double_buffered_kernelILb0ELi64ELi16ELi2Ed24rocblas_internal_val_ptrIdEPKdPdEvbiiT4_lT5_lllS6_lllT6_lmli
		.amdhsa_group_segment_fixed_size 0
		.amdhsa_private_segment_fixed_size 0
		.amdhsa_kernarg_size 132
		.amdhsa_user_sgpr_count 6
		.amdhsa_user_sgpr_private_segment_buffer 1
		.amdhsa_user_sgpr_dispatch_ptr 0
		.amdhsa_user_sgpr_queue_ptr 0
		.amdhsa_user_sgpr_kernarg_segment_ptr 1
		.amdhsa_user_sgpr_dispatch_id 0
		.amdhsa_user_sgpr_flat_scratch_init 0
		.amdhsa_user_sgpr_private_segment_size 0
		.amdhsa_uses_dynamic_stack 0
		.amdhsa_system_sgpr_private_segment_wavefront_offset 0
		.amdhsa_system_sgpr_workgroup_id_x 1
		.amdhsa_system_sgpr_workgroup_id_y 1
		.amdhsa_system_sgpr_workgroup_id_z 1
		.amdhsa_system_sgpr_workgroup_info 0
		.amdhsa_system_vgpr_workitem_id 1
		.amdhsa_next_free_vgpr 21
		.amdhsa_next_free_sgpr 30
		.amdhsa_reserve_vcc 1
		.amdhsa_reserve_flat_scratch 0
		.amdhsa_float_round_mode_32 0
		.amdhsa_float_round_mode_16_64 0
		.amdhsa_float_denorm_mode_32 3
		.amdhsa_float_denorm_mode_16_64 3
		.amdhsa_dx10_clamp 1
		.amdhsa_ieee_mode 1
		.amdhsa_fp16_overflow 0
		.amdhsa_exception_fp_ieee_invalid_op 0
		.amdhsa_exception_fp_denorm_src 0
		.amdhsa_exception_fp_ieee_div_zero 0
		.amdhsa_exception_fp_ieee_overflow 0
		.amdhsa_exception_fp_ieee_underflow 0
		.amdhsa_exception_fp_ieee_inexact 0
		.amdhsa_exception_int_div_zero 0
	.end_amdhsa_kernel
	.section	.text._ZL34rocblas_ger_double_buffered_kernelILb0ELi64ELi16ELi2Ed24rocblas_internal_val_ptrIdEPKdPdEvbiiT4_lT5_lllS6_lllT6_lmli,"axG",@progbits,_ZL34rocblas_ger_double_buffered_kernelILb0ELi64ELi16ELi2Ed24rocblas_internal_val_ptrIdEPKdPdEvbiiT4_lT5_lllS6_lllT6_lmli,comdat
.Lfunc_end7:
	.size	_ZL34rocblas_ger_double_buffered_kernelILb0ELi64ELi16ELi2Ed24rocblas_internal_val_ptrIdEPKdPdEvbiiT4_lT5_lllS6_lllT6_lmli, .Lfunc_end7-_ZL34rocblas_ger_double_buffered_kernelILb0ELi64ELi16ELi2Ed24rocblas_internal_val_ptrIdEPKdPdEvbiiT4_lT5_lllS6_lllT6_lmli
                                        ; -- End function
	.set _ZL34rocblas_ger_double_buffered_kernelILb0ELi64ELi16ELi2Ed24rocblas_internal_val_ptrIdEPKdPdEvbiiT4_lT5_lllS6_lllT6_lmli.num_vgpr, 21
	.set _ZL34rocblas_ger_double_buffered_kernelILb0ELi64ELi16ELi2Ed24rocblas_internal_val_ptrIdEPKdPdEvbiiT4_lT5_lllS6_lllT6_lmli.num_agpr, 0
	.set _ZL34rocblas_ger_double_buffered_kernelILb0ELi64ELi16ELi2Ed24rocblas_internal_val_ptrIdEPKdPdEvbiiT4_lT5_lllS6_lllT6_lmli.numbered_sgpr, 30
	.set _ZL34rocblas_ger_double_buffered_kernelILb0ELi64ELi16ELi2Ed24rocblas_internal_val_ptrIdEPKdPdEvbiiT4_lT5_lllS6_lllT6_lmli.num_named_barrier, 0
	.set _ZL34rocblas_ger_double_buffered_kernelILb0ELi64ELi16ELi2Ed24rocblas_internal_val_ptrIdEPKdPdEvbiiT4_lT5_lllS6_lllT6_lmli.private_seg_size, 0
	.set _ZL34rocblas_ger_double_buffered_kernelILb0ELi64ELi16ELi2Ed24rocblas_internal_val_ptrIdEPKdPdEvbiiT4_lT5_lllS6_lllT6_lmli.uses_vcc, 1
	.set _ZL34rocblas_ger_double_buffered_kernelILb0ELi64ELi16ELi2Ed24rocblas_internal_val_ptrIdEPKdPdEvbiiT4_lT5_lllS6_lllT6_lmli.uses_flat_scratch, 0
	.set _ZL34rocblas_ger_double_buffered_kernelILb0ELi64ELi16ELi2Ed24rocblas_internal_val_ptrIdEPKdPdEvbiiT4_lT5_lllS6_lllT6_lmli.has_dyn_sized_stack, 0
	.set _ZL34rocblas_ger_double_buffered_kernelILb0ELi64ELi16ELi2Ed24rocblas_internal_val_ptrIdEPKdPdEvbiiT4_lT5_lllS6_lllT6_lmli.has_recursion, 0
	.set _ZL34rocblas_ger_double_buffered_kernelILb0ELi64ELi16ELi2Ed24rocblas_internal_val_ptrIdEPKdPdEvbiiT4_lT5_lllS6_lllT6_lmli.has_indirect_call, 0
	.section	.AMDGPU.csdata,"",@progbits
; Kernel info:
; codeLenInByte = 844
; TotalNumSgprs: 34
; NumVgprs: 21
; ScratchSize: 0
; MemoryBound: 0
; FloatMode: 240
; IeeeMode: 1
; LDSByteSize: 0 bytes/workgroup (compile time only)
; SGPRBlocks: 4
; VGPRBlocks: 5
; NumSGPRsForWavesPerEU: 34
; NumVGPRsForWavesPerEU: 21
; Occupancy: 10
; WaveLimiterHint : 0
; COMPUTE_PGM_RSRC2:SCRATCH_EN: 0
; COMPUTE_PGM_RSRC2:USER_SGPR: 6
; COMPUTE_PGM_RSRC2:TRAP_HANDLER: 0
; COMPUTE_PGM_RSRC2:TGID_X_EN: 1
; COMPUTE_PGM_RSRC2:TGID_Y_EN: 1
; COMPUTE_PGM_RSRC2:TGID_Z_EN: 1
; COMPUTE_PGM_RSRC2:TIDIG_COMP_CNT: 1
	.section	.text._ZL26rocblas_sger_gfx942_kernelILi256EdPKdS1_PdEviiT1_lT2_lllS4_lllT3_lll,"axG",@progbits,_ZL26rocblas_sger_gfx942_kernelILi256EdPKdS1_PdEviiT1_lT2_lllS4_lllT3_lll,comdat
	.globl	_ZL26rocblas_sger_gfx942_kernelILi256EdPKdS1_PdEviiT1_lT2_lllS4_lllT3_lll ; -- Begin function _ZL26rocblas_sger_gfx942_kernelILi256EdPKdS1_PdEviiT1_lT2_lllS4_lllT3_lll
	.p2align	8
	.type	_ZL26rocblas_sger_gfx942_kernelILi256EdPKdS1_PdEviiT1_lT2_lllS4_lllT3_lll,@function
_ZL26rocblas_sger_gfx942_kernelILi256EdPKdS1_PdEviiT1_lT2_lllS4_lllT3_lll: ; @_ZL26rocblas_sger_gfx942_kernelILi256EdPKdS1_PdEviiT1_lT2_lllS4_lllT3_lll
; %bb.0:
	s_endpgm
	.section	.rodata,"a",@progbits
	.p2align	6, 0x0
	.amdhsa_kernel _ZL26rocblas_sger_gfx942_kernelILi256EdPKdS1_PdEviiT1_lT2_lllS4_lllT3_lll
		.amdhsa_group_segment_fixed_size 0
		.amdhsa_private_segment_fixed_size 0
		.amdhsa_kernarg_size 120
		.amdhsa_user_sgpr_count 6
		.amdhsa_user_sgpr_private_segment_buffer 1
		.amdhsa_user_sgpr_dispatch_ptr 0
		.amdhsa_user_sgpr_queue_ptr 0
		.amdhsa_user_sgpr_kernarg_segment_ptr 1
		.amdhsa_user_sgpr_dispatch_id 0
		.amdhsa_user_sgpr_flat_scratch_init 0
		.amdhsa_user_sgpr_private_segment_size 0
		.amdhsa_uses_dynamic_stack 0
		.amdhsa_system_sgpr_private_segment_wavefront_offset 0
		.amdhsa_system_sgpr_workgroup_id_x 1
		.amdhsa_system_sgpr_workgroup_id_y 0
		.amdhsa_system_sgpr_workgroup_id_z 0
		.amdhsa_system_sgpr_workgroup_info 0
		.amdhsa_system_vgpr_workitem_id 0
		.amdhsa_next_free_vgpr 1
		.amdhsa_next_free_sgpr 0
		.amdhsa_reserve_vcc 0
		.amdhsa_reserve_flat_scratch 0
		.amdhsa_float_round_mode_32 0
		.amdhsa_float_round_mode_16_64 0
		.amdhsa_float_denorm_mode_32 3
		.amdhsa_float_denorm_mode_16_64 3
		.amdhsa_dx10_clamp 1
		.amdhsa_ieee_mode 1
		.amdhsa_fp16_overflow 0
		.amdhsa_exception_fp_ieee_invalid_op 0
		.amdhsa_exception_fp_denorm_src 0
		.amdhsa_exception_fp_ieee_div_zero 0
		.amdhsa_exception_fp_ieee_overflow 0
		.amdhsa_exception_fp_ieee_underflow 0
		.amdhsa_exception_fp_ieee_inexact 0
		.amdhsa_exception_int_div_zero 0
	.end_amdhsa_kernel
	.section	.text._ZL26rocblas_sger_gfx942_kernelILi256EdPKdS1_PdEviiT1_lT2_lllS4_lllT3_lll,"axG",@progbits,_ZL26rocblas_sger_gfx942_kernelILi256EdPKdS1_PdEviiT1_lT2_lllS4_lllT3_lll,comdat
.Lfunc_end8:
	.size	_ZL26rocblas_sger_gfx942_kernelILi256EdPKdS1_PdEviiT1_lT2_lllS4_lllT3_lll, .Lfunc_end8-_ZL26rocblas_sger_gfx942_kernelILi256EdPKdS1_PdEviiT1_lT2_lllS4_lllT3_lll
                                        ; -- End function
	.set _ZL26rocblas_sger_gfx942_kernelILi256EdPKdS1_PdEviiT1_lT2_lllS4_lllT3_lll.num_vgpr, 0
	.set _ZL26rocblas_sger_gfx942_kernelILi256EdPKdS1_PdEviiT1_lT2_lllS4_lllT3_lll.num_agpr, 0
	.set _ZL26rocblas_sger_gfx942_kernelILi256EdPKdS1_PdEviiT1_lT2_lllS4_lllT3_lll.numbered_sgpr, 0
	.set _ZL26rocblas_sger_gfx942_kernelILi256EdPKdS1_PdEviiT1_lT2_lllS4_lllT3_lll.num_named_barrier, 0
	.set _ZL26rocblas_sger_gfx942_kernelILi256EdPKdS1_PdEviiT1_lT2_lllS4_lllT3_lll.private_seg_size, 0
	.set _ZL26rocblas_sger_gfx942_kernelILi256EdPKdS1_PdEviiT1_lT2_lllS4_lllT3_lll.uses_vcc, 0
	.set _ZL26rocblas_sger_gfx942_kernelILi256EdPKdS1_PdEviiT1_lT2_lllS4_lllT3_lll.uses_flat_scratch, 0
	.set _ZL26rocblas_sger_gfx942_kernelILi256EdPKdS1_PdEviiT1_lT2_lllS4_lllT3_lll.has_dyn_sized_stack, 0
	.set _ZL26rocblas_sger_gfx942_kernelILi256EdPKdS1_PdEviiT1_lT2_lllS4_lllT3_lll.has_recursion, 0
	.set _ZL26rocblas_sger_gfx942_kernelILi256EdPKdS1_PdEviiT1_lT2_lllS4_lllT3_lll.has_indirect_call, 0
	.section	.AMDGPU.csdata,"",@progbits
; Kernel info:
; codeLenInByte = 4
; TotalNumSgprs: 4
; NumVgprs: 0
; ScratchSize: 0
; MemoryBound: 0
; FloatMode: 240
; IeeeMode: 1
; LDSByteSize: 0 bytes/workgroup (compile time only)
; SGPRBlocks: 0
; VGPRBlocks: 0
; NumSGPRsForWavesPerEU: 4
; NumVGPRsForWavesPerEU: 1
; Occupancy: 10
; WaveLimiterHint : 0
; COMPUTE_PGM_RSRC2:SCRATCH_EN: 0
; COMPUTE_PGM_RSRC2:USER_SGPR: 6
; COMPUTE_PGM_RSRC2:TRAP_HANDLER: 0
; COMPUTE_PGM_RSRC2:TGID_X_EN: 1
; COMPUTE_PGM_RSRC2:TGID_Y_EN: 0
; COMPUTE_PGM_RSRC2:TGID_Z_EN: 0
; COMPUTE_PGM_RSRC2:TIDIG_COMP_CNT: 0
	.section	.text._ZL26rocblas_sger_gfx942_kernelILi256EddPKdPdEviiT1_lT2_lllS4_lllT3_lll,"axG",@progbits,_ZL26rocblas_sger_gfx942_kernelILi256EddPKdPdEviiT1_lT2_lllS4_lllT3_lll,comdat
	.globl	_ZL26rocblas_sger_gfx942_kernelILi256EddPKdPdEviiT1_lT2_lllS4_lllT3_lll ; -- Begin function _ZL26rocblas_sger_gfx942_kernelILi256EddPKdPdEviiT1_lT2_lllS4_lllT3_lll
	.p2align	8
	.type	_ZL26rocblas_sger_gfx942_kernelILi256EddPKdPdEviiT1_lT2_lllS4_lllT3_lll,@function
_ZL26rocblas_sger_gfx942_kernelILi256EddPKdPdEviiT1_lT2_lllS4_lllT3_lll: ; @_ZL26rocblas_sger_gfx942_kernelILi256EddPKdPdEviiT1_lT2_lllS4_lllT3_lll
; %bb.0:
	s_endpgm
	.section	.rodata,"a",@progbits
	.p2align	6, 0x0
	.amdhsa_kernel _ZL26rocblas_sger_gfx942_kernelILi256EddPKdPdEviiT1_lT2_lllS4_lllT3_lll
		.amdhsa_group_segment_fixed_size 0
		.amdhsa_private_segment_fixed_size 0
		.amdhsa_kernarg_size 120
		.amdhsa_user_sgpr_count 6
		.amdhsa_user_sgpr_private_segment_buffer 1
		.amdhsa_user_sgpr_dispatch_ptr 0
		.amdhsa_user_sgpr_queue_ptr 0
		.amdhsa_user_sgpr_kernarg_segment_ptr 1
		.amdhsa_user_sgpr_dispatch_id 0
		.amdhsa_user_sgpr_flat_scratch_init 0
		.amdhsa_user_sgpr_private_segment_size 0
		.amdhsa_uses_dynamic_stack 0
		.amdhsa_system_sgpr_private_segment_wavefront_offset 0
		.amdhsa_system_sgpr_workgroup_id_x 1
		.amdhsa_system_sgpr_workgroup_id_y 0
		.amdhsa_system_sgpr_workgroup_id_z 0
		.amdhsa_system_sgpr_workgroup_info 0
		.amdhsa_system_vgpr_workitem_id 0
		.amdhsa_next_free_vgpr 1
		.amdhsa_next_free_sgpr 0
		.amdhsa_reserve_vcc 0
		.amdhsa_reserve_flat_scratch 0
		.amdhsa_float_round_mode_32 0
		.amdhsa_float_round_mode_16_64 0
		.amdhsa_float_denorm_mode_32 3
		.amdhsa_float_denorm_mode_16_64 3
		.amdhsa_dx10_clamp 1
		.amdhsa_ieee_mode 1
		.amdhsa_fp16_overflow 0
		.amdhsa_exception_fp_ieee_invalid_op 0
		.amdhsa_exception_fp_denorm_src 0
		.amdhsa_exception_fp_ieee_div_zero 0
		.amdhsa_exception_fp_ieee_overflow 0
		.amdhsa_exception_fp_ieee_underflow 0
		.amdhsa_exception_fp_ieee_inexact 0
		.amdhsa_exception_int_div_zero 0
	.end_amdhsa_kernel
	.section	.text._ZL26rocblas_sger_gfx942_kernelILi256EddPKdPdEviiT1_lT2_lllS4_lllT3_lll,"axG",@progbits,_ZL26rocblas_sger_gfx942_kernelILi256EddPKdPdEviiT1_lT2_lllS4_lllT3_lll,comdat
.Lfunc_end9:
	.size	_ZL26rocblas_sger_gfx942_kernelILi256EddPKdPdEviiT1_lT2_lllS4_lllT3_lll, .Lfunc_end9-_ZL26rocblas_sger_gfx942_kernelILi256EddPKdPdEviiT1_lT2_lllS4_lllT3_lll
                                        ; -- End function
	.set _ZL26rocblas_sger_gfx942_kernelILi256EddPKdPdEviiT1_lT2_lllS4_lllT3_lll.num_vgpr, 0
	.set _ZL26rocblas_sger_gfx942_kernelILi256EddPKdPdEviiT1_lT2_lllS4_lllT3_lll.num_agpr, 0
	.set _ZL26rocblas_sger_gfx942_kernelILi256EddPKdPdEviiT1_lT2_lllS4_lllT3_lll.numbered_sgpr, 0
	.set _ZL26rocblas_sger_gfx942_kernelILi256EddPKdPdEviiT1_lT2_lllS4_lllT3_lll.num_named_barrier, 0
	.set _ZL26rocblas_sger_gfx942_kernelILi256EddPKdPdEviiT1_lT2_lllS4_lllT3_lll.private_seg_size, 0
	.set _ZL26rocblas_sger_gfx942_kernelILi256EddPKdPdEviiT1_lT2_lllS4_lllT3_lll.uses_vcc, 0
	.set _ZL26rocblas_sger_gfx942_kernelILi256EddPKdPdEviiT1_lT2_lllS4_lllT3_lll.uses_flat_scratch, 0
	.set _ZL26rocblas_sger_gfx942_kernelILi256EddPKdPdEviiT1_lT2_lllS4_lllT3_lll.has_dyn_sized_stack, 0
	.set _ZL26rocblas_sger_gfx942_kernelILi256EddPKdPdEviiT1_lT2_lllS4_lllT3_lll.has_recursion, 0
	.set _ZL26rocblas_sger_gfx942_kernelILi256EddPKdPdEviiT1_lT2_lllS4_lllT3_lll.has_indirect_call, 0
	.section	.AMDGPU.csdata,"",@progbits
; Kernel info:
; codeLenInByte = 4
; TotalNumSgprs: 4
; NumVgprs: 0
; ScratchSize: 0
; MemoryBound: 0
; FloatMode: 240
; IeeeMode: 1
; LDSByteSize: 0 bytes/workgroup (compile time only)
; SGPRBlocks: 0
; VGPRBlocks: 0
; NumSGPRsForWavesPerEU: 4
; NumVGPRsForWavesPerEU: 1
; Occupancy: 10
; WaveLimiterHint : 0
; COMPUTE_PGM_RSRC2:SCRATCH_EN: 0
; COMPUTE_PGM_RSRC2:USER_SGPR: 6
; COMPUTE_PGM_RSRC2:TRAP_HANDLER: 0
; COMPUTE_PGM_RSRC2:TGID_X_EN: 1
; COMPUTE_PGM_RSRC2:TGID_Y_EN: 0
; COMPUTE_PGM_RSRC2:TGID_Z_EN: 0
; COMPUTE_PGM_RSRC2:TIDIG_COMP_CNT: 0
	.section	.text._ZL19rocblas_sger_kernelILi1024EdPKdS1_PdEviiT1_lT2_lllS4_lllT3_lmli,"axG",@progbits,_ZL19rocblas_sger_kernelILi1024EdPKdS1_PdEviiT1_lT2_lllS4_lllT3_lmli,comdat
	.globl	_ZL19rocblas_sger_kernelILi1024EdPKdS1_PdEviiT1_lT2_lllS4_lllT3_lmli ; -- Begin function _ZL19rocblas_sger_kernelILi1024EdPKdS1_PdEviiT1_lT2_lllS4_lllT3_lmli
	.p2align	8
	.type	_ZL19rocblas_sger_kernelILi1024EdPKdS1_PdEviiT1_lT2_lllS4_lllT3_lmli,@function
_ZL19rocblas_sger_kernelILi1024EdPKdS1_PdEviiT1_lT2_lllS4_lllT3_lmli: ; @_ZL19rocblas_sger_kernelILi1024EdPKdS1_PdEviiT1_lT2_lllS4_lllT3_lmli
; %bb.0:
	s_load_dwordx4 s[0:3], s[4:5], 0x8
	s_waitcnt lgkmcnt(0)
	s_mul_i32 s3, s3, s7
	s_mul_hi_u32 s8, s2, s7
	s_add_i32 s3, s8, s3
	s_mul_i32 s2, s2, s7
	s_lshl_b64 s[2:3], s[2:3], 3
	s_add_u32 s0, s0, s2
	s_addc_u32 s1, s1, s3
	s_load_dwordx2 s[24:25], s[0:1], 0x0
	s_waitcnt lgkmcnt(0)
	v_cmp_eq_f64_e64 s[0:1], s[24:25], 0
	s_and_b64 vcc, exec, s[0:1]
	s_cbranch_vccnz .LBB10_4
; %bb.1:
	s_load_dword s28, s[4:5], 0x0
	s_waitcnt lgkmcnt(0)
	v_cmp_gt_i32_e32 vcc, s28, v0
	s_and_saveexec_b64 s[0:1], vcc
	s_cbranch_execz .LBB10_4
; %bb.2:
	s_load_dwordx8 s[16:23], s[4:5], 0x50
	s_load_dwordx8 s[8:15], s[4:5], 0x30
	s_load_dwordx2 s[26:27], s[4:5], 0x18
	s_load_dwordx4 s[0:3], s[4:5], 0x20
	s_load_dwordx2 s[30:31], s[4:5], 0x70
	s_waitcnt lgkmcnt(0)
	s_mul_i32 s4, s17, s7
	s_mul_hi_u32 s5, s16, s7
	s_add_i32 s5, s5, s4
	s_mul_i32 s4, s16, s7
	s_lshl_b64 s[4:5], s[4:5], 3
	s_add_u32 s10, s10, s4
	s_addc_u32 s11, s11, s5
	s_lshl_b64 s[4:5], s[12:13], 3
	s_add_u32 s12, s10, s4
	s_addc_u32 s13, s11, s5
	s_mul_i32 s4, s31, s7
	s_mul_hi_u32 s5, s30, s7
	s_add_i32 s5, s5, s4
	s_mul_i32 s4, s30, s7
	s_lshl_b64 s[4:5], s[4:5], 3
	s_add_u32 s10, s18, s4
	s_addc_u32 s11, s19, s5
	s_lshl_b64 s[4:5], s[20:21], 3
	s_add_u32 s4, s10, s4
	v_cndmask_b32_e32 v1, 0, v0, vcc
	s_addc_u32 s5, s11, s5
	v_lshlrev_b32_e32 v1, 3, v1
	s_ashr_i32 s10, s6, 31
	v_mov_b32_e32 v2, s5
	v_add_co_u32_e32 v1, vcc, s4, v1
	s_mul_hi_u32 s4, s22, s6
	s_mul_i32 s5, s22, s10
	s_add_i32 s4, s4, s5
	s_mul_i32 s5, s23, s6
	s_add_i32 s5, s4, s5
	s_mul_i32 s4, s22, s6
	s_lshl_b64 s[4:5], s[4:5], 3
	v_mov_b32_e32 v3, s5
	s_mul_hi_u32 s5, s14, s6
	s_mul_i32 s10, s14, s10
	s_add_i32 s5, s5, s10
	s_mul_i32 s10, s15, s6
	s_add_i32 s11, s5, s10
	s_mul_i32 s10, s14, s6
	s_lshl_b64 s[10:11], s[10:11], 3
	s_add_u32 s10, s12, s10
	s_addc_u32 s11, s13, s11
	s_load_dwordx2 s[10:11], s[10:11], 0x0
	v_addc_co_u32_e32 v2, vcc, 0, v2, vcc
	v_add_co_u32_e32 v1, vcc, s4, v1
	v_mad_u64_u32 v[5:6], s[4:5], s2, v0, 0
	v_addc_co_u32_e32 v2, vcc, v2, v3, vcc
	s_waitcnt lgkmcnt(0)
	v_mov_b32_e32 v3, s10
	v_mov_b32_e32 v4, s11
	s_mul_i32 s6, s9, s7
	s_mul_hi_u32 s9, s8, s7
	v_mad_u64_u32 v[6:7], s[4:5], s3, v0, v[6:7]
	v_mul_f64 v[3:4], s[24:25], v[3:4]
	s_add_i32 s5, s9, s6
	s_mul_i32 s4, s8, s7
	s_lshl_b64 s[4:5], s[4:5], 3
	s_lshl_b64 s[0:1], s[0:1], 3
	s_add_u32 s0, s26, s0
	s_addc_u32 s1, s27, s1
	v_lshlrev_b64 v[5:6], 3, v[5:6]
	s_add_u32 s0, s0, s4
	s_addc_u32 s1, s1, s5
	v_mov_b32_e32 v7, s1
	v_add_co_u32_e32 v5, vcc, s0, v5
	s_lshl_b64 s[0:1], s[2:3], 13
	v_addc_co_u32_e32 v6, vcc, v7, v6, vcc
	s_mov_b64 s[2:3], 0
	v_mov_b32_e32 v7, s1
.LBB10_3:                               ; =>This Inner Loop Header: Depth=1
	global_load_dwordx2 v[8:9], v[5:6], off
	global_load_dwordx2 v[10:11], v[1:2], off
	v_add_co_u32_e32 v5, vcc, s0, v5
	v_addc_co_u32_e32 v6, vcc, v6, v7, vcc
	v_add_u32_e32 v0, 0x400, v0
	v_cmp_le_i32_e32 vcc, s28, v0
	s_or_b64 s[2:3], vcc, s[2:3]
	s_waitcnt vmcnt(0)
	v_fma_f64 v[8:9], v[3:4], v[8:9], v[10:11]
	global_store_dwordx2 v[1:2], v[8:9], off
	v_add_co_u32_e32 v1, vcc, 0x2000, v1
	v_addc_co_u32_e32 v2, vcc, 0, v2, vcc
	s_andn2_b64 exec, exec, s[2:3]
	s_cbranch_execnz .LBB10_3
.LBB10_4:
	s_endpgm
	.section	.rodata,"a",@progbits
	.p2align	6, 0x0
	.amdhsa_kernel _ZL19rocblas_sger_kernelILi1024EdPKdS1_PdEviiT1_lT2_lllS4_lllT3_lmli
		.amdhsa_group_segment_fixed_size 0
		.amdhsa_private_segment_fixed_size 0
		.amdhsa_kernarg_size 124
		.amdhsa_user_sgpr_count 6
		.amdhsa_user_sgpr_private_segment_buffer 1
		.amdhsa_user_sgpr_dispatch_ptr 0
		.amdhsa_user_sgpr_queue_ptr 0
		.amdhsa_user_sgpr_kernarg_segment_ptr 1
		.amdhsa_user_sgpr_dispatch_id 0
		.amdhsa_user_sgpr_flat_scratch_init 0
		.amdhsa_user_sgpr_private_segment_size 0
		.amdhsa_uses_dynamic_stack 0
		.amdhsa_system_sgpr_private_segment_wavefront_offset 0
		.amdhsa_system_sgpr_workgroup_id_x 1
		.amdhsa_system_sgpr_workgroup_id_y 0
		.amdhsa_system_sgpr_workgroup_id_z 1
		.amdhsa_system_sgpr_workgroup_info 0
		.amdhsa_system_vgpr_workitem_id 0
		.amdhsa_next_free_vgpr 12
		.amdhsa_next_free_sgpr 32
		.amdhsa_reserve_vcc 1
		.amdhsa_reserve_flat_scratch 0
		.amdhsa_float_round_mode_32 0
		.amdhsa_float_round_mode_16_64 0
		.amdhsa_float_denorm_mode_32 3
		.amdhsa_float_denorm_mode_16_64 3
		.amdhsa_dx10_clamp 1
		.amdhsa_ieee_mode 1
		.amdhsa_fp16_overflow 0
		.amdhsa_exception_fp_ieee_invalid_op 0
		.amdhsa_exception_fp_denorm_src 0
		.amdhsa_exception_fp_ieee_div_zero 0
		.amdhsa_exception_fp_ieee_overflow 0
		.amdhsa_exception_fp_ieee_underflow 0
		.amdhsa_exception_fp_ieee_inexact 0
		.amdhsa_exception_int_div_zero 0
	.end_amdhsa_kernel
	.section	.text._ZL19rocblas_sger_kernelILi1024EdPKdS1_PdEviiT1_lT2_lllS4_lllT3_lmli,"axG",@progbits,_ZL19rocblas_sger_kernelILi1024EdPKdS1_PdEviiT1_lT2_lllS4_lllT3_lmli,comdat
.Lfunc_end10:
	.size	_ZL19rocblas_sger_kernelILi1024EdPKdS1_PdEviiT1_lT2_lllS4_lllT3_lmli, .Lfunc_end10-_ZL19rocblas_sger_kernelILi1024EdPKdS1_PdEviiT1_lT2_lllS4_lllT3_lmli
                                        ; -- End function
	.set _ZL19rocblas_sger_kernelILi1024EdPKdS1_PdEviiT1_lT2_lllS4_lllT3_lmli.num_vgpr, 12
	.set _ZL19rocblas_sger_kernelILi1024EdPKdS1_PdEviiT1_lT2_lllS4_lllT3_lmli.num_agpr, 0
	.set _ZL19rocblas_sger_kernelILi1024EdPKdS1_PdEviiT1_lT2_lllS4_lllT3_lmli.numbered_sgpr, 32
	.set _ZL19rocblas_sger_kernelILi1024EdPKdS1_PdEviiT1_lT2_lllS4_lllT3_lmli.num_named_barrier, 0
	.set _ZL19rocblas_sger_kernelILi1024EdPKdS1_PdEviiT1_lT2_lllS4_lllT3_lmli.private_seg_size, 0
	.set _ZL19rocblas_sger_kernelILi1024EdPKdS1_PdEviiT1_lT2_lllS4_lllT3_lmli.uses_vcc, 1
	.set _ZL19rocblas_sger_kernelILi1024EdPKdS1_PdEviiT1_lT2_lllS4_lllT3_lmli.uses_flat_scratch, 0
	.set _ZL19rocblas_sger_kernelILi1024EdPKdS1_PdEviiT1_lT2_lllS4_lllT3_lmli.has_dyn_sized_stack, 0
	.set _ZL19rocblas_sger_kernelILi1024EdPKdS1_PdEviiT1_lT2_lllS4_lllT3_lmli.has_recursion, 0
	.set _ZL19rocblas_sger_kernelILi1024EdPKdS1_PdEviiT1_lT2_lllS4_lllT3_lmli.has_indirect_call, 0
	.section	.AMDGPU.csdata,"",@progbits
; Kernel info:
; codeLenInByte = 516
; TotalNumSgprs: 36
; NumVgprs: 12
; ScratchSize: 0
; MemoryBound: 0
; FloatMode: 240
; IeeeMode: 1
; LDSByteSize: 0 bytes/workgroup (compile time only)
; SGPRBlocks: 4
; VGPRBlocks: 2
; NumSGPRsForWavesPerEU: 36
; NumVGPRsForWavesPerEU: 12
; Occupancy: 10
; WaveLimiterHint : 0
; COMPUTE_PGM_RSRC2:SCRATCH_EN: 0
; COMPUTE_PGM_RSRC2:USER_SGPR: 6
; COMPUTE_PGM_RSRC2:TRAP_HANDLER: 0
; COMPUTE_PGM_RSRC2:TGID_X_EN: 1
; COMPUTE_PGM_RSRC2:TGID_Y_EN: 0
; COMPUTE_PGM_RSRC2:TGID_Z_EN: 1
; COMPUTE_PGM_RSRC2:TIDIG_COMP_CNT: 0
	.section	.text._ZL19rocblas_sger_kernelILi1024EddPKdPdEviiT1_lT2_lllS4_lllT3_lmli,"axG",@progbits,_ZL19rocblas_sger_kernelILi1024EddPKdPdEviiT1_lT2_lllS4_lllT3_lmli,comdat
	.globl	_ZL19rocblas_sger_kernelILi1024EddPKdPdEviiT1_lT2_lllS4_lllT3_lmli ; -- Begin function _ZL19rocblas_sger_kernelILi1024EddPKdPdEviiT1_lT2_lllS4_lllT3_lmli
	.p2align	8
	.type	_ZL19rocblas_sger_kernelILi1024EddPKdPdEviiT1_lT2_lllS4_lllT3_lmli,@function
_ZL19rocblas_sger_kernelILi1024EddPKdPdEviiT1_lT2_lllS4_lllT3_lmli: ; @_ZL19rocblas_sger_kernelILi1024EddPKdPdEviiT1_lT2_lllS4_lllT3_lmli
; %bb.0:
	s_load_dwordx2 s[24:25], s[4:5], 0x8
	s_waitcnt lgkmcnt(0)
	v_cmp_eq_f64_e64 s[0:1], s[24:25], 0
	s_and_b64 vcc, exec, s[0:1]
	s_cbranch_vccnz .LBB11_4
; %bb.1:
	s_load_dword s28, s[4:5], 0x0
	s_waitcnt lgkmcnt(0)
	v_cmp_gt_i32_e32 vcc, s28, v0
	s_and_saveexec_b64 s[0:1], vcc
	s_cbranch_execz .LBB11_4
; %bb.2:
	s_load_dwordx8 s[16:23], s[4:5], 0x50
	s_load_dwordx8 s[8:15], s[4:5], 0x30
	s_load_dwordx2 s[26:27], s[4:5], 0x18
	s_load_dwordx4 s[0:3], s[4:5], 0x20
	s_load_dwordx2 s[30:31], s[4:5], 0x70
	s_waitcnt lgkmcnt(0)
	s_mul_i32 s4, s17, s7
	s_mul_hi_u32 s5, s16, s7
	s_add_i32 s5, s5, s4
	s_mul_i32 s4, s16, s7
	s_lshl_b64 s[4:5], s[4:5], 3
	s_add_u32 s10, s10, s4
	s_addc_u32 s11, s11, s5
	s_lshl_b64 s[4:5], s[12:13], 3
	s_add_u32 s12, s10, s4
	s_addc_u32 s13, s11, s5
	s_mul_i32 s4, s31, s7
	s_mul_hi_u32 s5, s30, s7
	s_add_i32 s5, s5, s4
	s_mul_i32 s4, s30, s7
	s_lshl_b64 s[4:5], s[4:5], 3
	s_add_u32 s10, s18, s4
	s_addc_u32 s11, s19, s5
	s_lshl_b64 s[4:5], s[20:21], 3
	s_add_u32 s4, s10, s4
	v_cndmask_b32_e32 v1, 0, v0, vcc
	s_addc_u32 s5, s11, s5
	v_lshlrev_b32_e32 v1, 3, v1
	s_ashr_i32 s10, s6, 31
	v_mov_b32_e32 v2, s5
	v_add_co_u32_e32 v1, vcc, s4, v1
	s_mul_hi_u32 s4, s22, s6
	s_mul_i32 s5, s22, s10
	s_add_i32 s4, s4, s5
	s_mul_i32 s5, s23, s6
	s_add_i32 s5, s4, s5
	s_mul_i32 s4, s22, s6
	s_lshl_b64 s[4:5], s[4:5], 3
	v_mov_b32_e32 v3, s5
	s_mul_hi_u32 s5, s14, s6
	s_mul_i32 s10, s14, s10
	s_add_i32 s5, s5, s10
	s_mul_i32 s10, s15, s6
	s_add_i32 s11, s5, s10
	s_mul_i32 s10, s14, s6
	s_lshl_b64 s[10:11], s[10:11], 3
	s_add_u32 s10, s12, s10
	s_addc_u32 s11, s13, s11
	s_load_dwordx2 s[10:11], s[10:11], 0x0
	v_addc_co_u32_e32 v2, vcc, 0, v2, vcc
	v_add_co_u32_e32 v1, vcc, s4, v1
	v_mad_u64_u32 v[5:6], s[4:5], s2, v0, 0
	v_addc_co_u32_e32 v2, vcc, v2, v3, vcc
	s_waitcnt lgkmcnt(0)
	v_mov_b32_e32 v3, s10
	v_mov_b32_e32 v4, s11
	s_mul_i32 s6, s9, s7
	s_mul_hi_u32 s9, s8, s7
	v_mad_u64_u32 v[6:7], s[4:5], s3, v0, v[6:7]
	v_mul_f64 v[3:4], s[24:25], v[3:4]
	s_add_i32 s5, s9, s6
	s_mul_i32 s4, s8, s7
	s_lshl_b64 s[4:5], s[4:5], 3
	s_lshl_b64 s[0:1], s[0:1], 3
	s_add_u32 s0, s26, s0
	s_addc_u32 s1, s27, s1
	v_lshlrev_b64 v[5:6], 3, v[5:6]
	s_add_u32 s0, s0, s4
	s_addc_u32 s1, s1, s5
	v_mov_b32_e32 v7, s1
	v_add_co_u32_e32 v5, vcc, s0, v5
	s_lshl_b64 s[0:1], s[2:3], 13
	v_addc_co_u32_e32 v6, vcc, v7, v6, vcc
	s_mov_b64 s[2:3], 0
	v_mov_b32_e32 v7, s1
.LBB11_3:                               ; =>This Inner Loop Header: Depth=1
	global_load_dwordx2 v[8:9], v[5:6], off
	global_load_dwordx2 v[10:11], v[1:2], off
	v_add_co_u32_e32 v5, vcc, s0, v5
	v_addc_co_u32_e32 v6, vcc, v6, v7, vcc
	v_add_u32_e32 v0, 0x400, v0
	v_cmp_le_i32_e32 vcc, s28, v0
	s_or_b64 s[2:3], vcc, s[2:3]
	s_waitcnt vmcnt(0)
	v_fma_f64 v[8:9], v[3:4], v[8:9], v[10:11]
	global_store_dwordx2 v[1:2], v[8:9], off
	v_add_co_u32_e32 v1, vcc, 0x2000, v1
	v_addc_co_u32_e32 v2, vcc, 0, v2, vcc
	s_andn2_b64 exec, exec, s[2:3]
	s_cbranch_execnz .LBB11_3
.LBB11_4:
	s_endpgm
	.section	.rodata,"a",@progbits
	.p2align	6, 0x0
	.amdhsa_kernel _ZL19rocblas_sger_kernelILi1024EddPKdPdEviiT1_lT2_lllS4_lllT3_lmli
		.amdhsa_group_segment_fixed_size 0
		.amdhsa_private_segment_fixed_size 0
		.amdhsa_kernarg_size 124
		.amdhsa_user_sgpr_count 6
		.amdhsa_user_sgpr_private_segment_buffer 1
		.amdhsa_user_sgpr_dispatch_ptr 0
		.amdhsa_user_sgpr_queue_ptr 0
		.amdhsa_user_sgpr_kernarg_segment_ptr 1
		.amdhsa_user_sgpr_dispatch_id 0
		.amdhsa_user_sgpr_flat_scratch_init 0
		.amdhsa_user_sgpr_private_segment_size 0
		.amdhsa_uses_dynamic_stack 0
		.amdhsa_system_sgpr_private_segment_wavefront_offset 0
		.amdhsa_system_sgpr_workgroup_id_x 1
		.amdhsa_system_sgpr_workgroup_id_y 0
		.amdhsa_system_sgpr_workgroup_id_z 1
		.amdhsa_system_sgpr_workgroup_info 0
		.amdhsa_system_vgpr_workitem_id 0
		.amdhsa_next_free_vgpr 12
		.amdhsa_next_free_sgpr 32
		.amdhsa_reserve_vcc 1
		.amdhsa_reserve_flat_scratch 0
		.amdhsa_float_round_mode_32 0
		.amdhsa_float_round_mode_16_64 0
		.amdhsa_float_denorm_mode_32 3
		.amdhsa_float_denorm_mode_16_64 3
		.amdhsa_dx10_clamp 1
		.amdhsa_ieee_mode 1
		.amdhsa_fp16_overflow 0
		.amdhsa_exception_fp_ieee_invalid_op 0
		.amdhsa_exception_fp_denorm_src 0
		.amdhsa_exception_fp_ieee_div_zero 0
		.amdhsa_exception_fp_ieee_overflow 0
		.amdhsa_exception_fp_ieee_underflow 0
		.amdhsa_exception_fp_ieee_inexact 0
		.amdhsa_exception_int_div_zero 0
	.end_amdhsa_kernel
	.section	.text._ZL19rocblas_sger_kernelILi1024EddPKdPdEviiT1_lT2_lllS4_lllT3_lmli,"axG",@progbits,_ZL19rocblas_sger_kernelILi1024EddPKdPdEviiT1_lT2_lllS4_lllT3_lmli,comdat
.Lfunc_end11:
	.size	_ZL19rocblas_sger_kernelILi1024EddPKdPdEviiT1_lT2_lllS4_lllT3_lmli, .Lfunc_end11-_ZL19rocblas_sger_kernelILi1024EddPKdPdEviiT1_lT2_lllS4_lllT3_lmli
                                        ; -- End function
	.set _ZL19rocblas_sger_kernelILi1024EddPKdPdEviiT1_lT2_lllS4_lllT3_lmli.num_vgpr, 12
	.set _ZL19rocblas_sger_kernelILi1024EddPKdPdEviiT1_lT2_lllS4_lllT3_lmli.num_agpr, 0
	.set _ZL19rocblas_sger_kernelILi1024EddPKdPdEviiT1_lT2_lllS4_lllT3_lmli.numbered_sgpr, 32
	.set _ZL19rocblas_sger_kernelILi1024EddPKdPdEviiT1_lT2_lllS4_lllT3_lmli.num_named_barrier, 0
	.set _ZL19rocblas_sger_kernelILi1024EddPKdPdEviiT1_lT2_lllS4_lllT3_lmli.private_seg_size, 0
	.set _ZL19rocblas_sger_kernelILi1024EddPKdPdEviiT1_lT2_lllS4_lllT3_lmli.uses_vcc, 1
	.set _ZL19rocblas_sger_kernelILi1024EddPKdPdEviiT1_lT2_lllS4_lllT3_lmli.uses_flat_scratch, 0
	.set _ZL19rocblas_sger_kernelILi1024EddPKdPdEviiT1_lT2_lllS4_lllT3_lmli.has_dyn_sized_stack, 0
	.set _ZL19rocblas_sger_kernelILi1024EddPKdPdEviiT1_lT2_lllS4_lllT3_lmli.has_recursion, 0
	.set _ZL19rocblas_sger_kernelILi1024EddPKdPdEviiT1_lT2_lllS4_lllT3_lmli.has_indirect_call, 0
	.section	.AMDGPU.csdata,"",@progbits
; Kernel info:
; codeLenInByte = 476
; TotalNumSgprs: 36
; NumVgprs: 12
; ScratchSize: 0
; MemoryBound: 0
; FloatMode: 240
; IeeeMode: 1
; LDSByteSize: 0 bytes/workgroup (compile time only)
; SGPRBlocks: 4
; VGPRBlocks: 2
; NumSGPRsForWavesPerEU: 36
; NumVGPRsForWavesPerEU: 12
; Occupancy: 10
; WaveLimiterHint : 0
; COMPUTE_PGM_RSRC2:SCRATCH_EN: 0
; COMPUTE_PGM_RSRC2:USER_SGPR: 6
; COMPUTE_PGM_RSRC2:TRAP_HANDLER: 0
; COMPUTE_PGM_RSRC2:TGID_X_EN: 1
; COMPUTE_PGM_RSRC2:TGID_Y_EN: 0
; COMPUTE_PGM_RSRC2:TGID_Z_EN: 1
; COMPUTE_PGM_RSRC2:TIDIG_COMP_CNT: 0
	.section	.text._ZL18rocblas_ger_kernelILi32ELi32ELi2ELb0EdPKdS1_PdEviiT4_lT5_lllS4_lllT6_lmli,"axG",@progbits,_ZL18rocblas_ger_kernelILi32ELi32ELi2ELb0EdPKdS1_PdEviiT4_lT5_lllS4_lllT6_lmli,comdat
	.globl	_ZL18rocblas_ger_kernelILi32ELi32ELi2ELb0EdPKdS1_PdEviiT4_lT5_lllS4_lllT6_lmli ; -- Begin function _ZL18rocblas_ger_kernelILi32ELi32ELi2ELb0EdPKdS1_PdEviiT4_lT5_lllS4_lllT6_lmli
	.p2align	8
	.type	_ZL18rocblas_ger_kernelILi32ELi32ELi2ELb0EdPKdS1_PdEviiT4_lT5_lllS4_lllT6_lmli,@function
_ZL18rocblas_ger_kernelILi32ELi32ELi2ELb0EdPKdS1_PdEviiT4_lT5_lllS4_lllT6_lmli: ; @_ZL18rocblas_ger_kernelILi32ELi32ELi2ELb0EdPKdS1_PdEviiT4_lT5_lllS4_lllT6_lmli
; %bb.0:
	s_load_dwordx2 s[8:9], s[4:5], 0x0
	s_load_dwordx4 s[12:15], s[4:5], 0x8
	s_waitcnt lgkmcnt(0)
	s_add_i32 s0, s8, -1
	s_ashr_i32 s1, s0, 31
	s_lshr_b32 s1, s1, 27
	s_add_i32 s0, s0, s1
	s_ashr_i32 s3, s0, 5
	s_mul_i32 s0, s15, s7
	s_mul_hi_u32 s1, s14, s7
	s_add_i32 s1, s1, s0
	s_mul_i32 s0, s14, s7
	s_add_i32 s2, s3, 1
	s_lshl_b64 s[0:1], s[0:1], 3
	s_add_u32 s0, s12, s0
	s_addc_u32 s1, s13, s1
	v_cvt_f32_u32_e32 v2, s2
	s_load_dwordx2 s[10:11], s[0:1], 0x0
	v_rcp_iflag_f32_e32 v2, v2
	s_waitcnt lgkmcnt(0)
	v_cmp_eq_f64_e64 s[0:1], s[10:11], 0
	v_mul_f32_e32 v2, 0x4f7ffffe, v2
	v_cvt_u32_f32_e32 v2, v2
	v_readfirstlane_b32 s14, v2
	s_and_b64 vcc, exec, s[0:1]
	s_cbranch_vccnz .LBB12_14
; %bb.1:
	s_not_b32 s3, s3
	s_mul_i32 s3, s3, s14
	s_mul_hi_u32 s3, s14, s3
	s_add_i32 s14, s14, s3
	s_mul_hi_u32 s3, s6, s14
	s_mul_i32 s14, s3, s2
	s_sub_i32 s14, s6, s14
	s_add_i32 s15, s3, 1
	s_sub_i32 s16, s14, s2
	s_cmp_ge_u32 s14, s2
	s_cselect_b32 s3, s15, s3
	s_cselect_b32 s14, s16, s14
	s_add_i32 s15, s3, 1
	s_load_dwordx2 s[12:13], s[4:5], 0x58
	s_load_dwordx2 s[0:1], s[4:5], 0x38
	s_cmp_ge_u32 s14, s2
	s_cselect_b32 s16, s15, s3
	s_mul_i32 s2, s16, s2
	s_sub_i32 s2, s6, s2
	v_lshl_add_u32 v2, s2, 5, v0
	v_cmp_eq_u32_e32 vcc, 0, v1
	s_and_saveexec_b64 s[2:3], vcc
	s_cbranch_execz .LBB12_5
; %bb.2:
	v_mov_b32_e32 v3, 0
	v_mov_b32_e32 v4, 0
	v_cmp_gt_i32_e32 vcc, s8, v2
	s_and_saveexec_b64 s[14:15], vcc
	s_cbranch_execz .LBB12_4
; %bb.3:
	s_load_dwordx2 s[18:19], s[4:5], 0x30
	s_load_dwordx2 s[24:25], s[4:5], 0x18
	s_load_dwordx4 s[20:23], s[4:5], 0x20
	v_ashrrev_i32_e32 v3, 31, v2
	s_waitcnt lgkmcnt(0)
	s_mul_i32 s6, s19, s7
	s_mul_hi_u32 s17, s18, s7
	s_mul_i32 s18, s18, s7
	s_add_i32 s19, s17, s6
	s_lshl_b64 s[18:19], s[18:19], 3
	s_add_u32 s6, s24, s18
	s_addc_u32 s17, s25, s19
	v_mul_lo_u32 v5, s23, v2
	v_mul_lo_u32 v6, s22, v3
	v_mad_u64_u32 v[3:4], s[18:19], s22, v2, 0
	s_lshl_b64 s[18:19], s[20:21], 3
	s_add_u32 s6, s6, s18
	v_add3_u32 v4, v4, v6, v5
	v_lshlrev_b64 v[3:4], 3, v[3:4]
	s_addc_u32 s17, s17, s19
	v_mov_b32_e32 v5, s17
	v_add_co_u32_e32 v3, vcc, s6, v3
	v_addc_co_u32_e32 v4, vcc, v5, v4, vcc
	global_load_dwordx2 v[3:4], v[3:4], off
.LBB12_4:
	s_or_b64 exec, exec, s[14:15]
	v_lshlrev_b32_e32 v5, 3, v0
	s_waitcnt vmcnt(0)
	ds_write_b64 v5, v[3:4] offset:512
.LBB12_5:
	s_or_b64 exec, exec, s[2:3]
	v_lshlrev_b32_e32 v6, 1, v1
	v_lshl_add_u32 v5, s16, 6, v6
	v_cmp_gt_u32_e32 vcc, 2, v0
	s_and_saveexec_b64 s[2:3], vcc
	s_cbranch_execz .LBB12_9
; %bb.6:
	v_or_b32_e32 v1, v5, v0
	v_mov_b32_e32 v3, 0
	v_mov_b32_e32 v4, 0
	v_cmp_gt_u32_e32 vcc, s9, v1
	s_and_saveexec_b64 s[14:15], vcc
	s_cbranch_execz .LBB12_8
; %bb.7:
	s_load_dwordx2 s[20:21], s[4:5], 0x50
	s_load_dwordx4 s[16:19], s[4:5], 0x40
	s_waitcnt lgkmcnt(0)
	s_mul_i32 s6, s21, s7
	s_mul_hi_u32 s21, s20, s7
	v_mad_u64_u32 v[3:4], s[22:23], s18, v1, 0
	s_mul_i32 s20, s20, s7
	s_add_i32 s21, s21, s6
	s_lshl_b64 s[20:21], s[20:21], 3
	s_add_u32 s6, s0, s20
	s_addc_u32 s18, s1, s21
	v_mad_u64_u32 v[7:8], s[0:1], s19, v1, v[4:5]
	s_lshl_b64 s[0:1], s[16:17], 3
	s_add_u32 s0, s6, s0
	v_mov_b32_e32 v4, v7
	v_lshlrev_b64 v[3:4], 3, v[3:4]
	s_addc_u32 s1, s18, s1
	v_mov_b32_e32 v1, s1
	v_add_co_u32_e32 v3, vcc, s0, v3
	v_addc_co_u32_e32 v4, vcc, v1, v4, vcc
	global_load_dwordx2 v[3:4], v[3:4], off
.LBB12_8:
	s_or_b64 exec, exec, s[14:15]
	v_lshlrev_b32_e32 v1, 3, v0
	v_lshl_add_u32 v1, v6, 3, v1
	s_waitcnt vmcnt(0)
	ds_write_b64 v1, v[3:4]
.LBB12_9:
	s_or_b64 exec, exec, s[2:3]
	v_cmp_gt_i32_e32 vcc, s8, v2
	s_waitcnt lgkmcnt(0)
	s_barrier
	s_and_saveexec_b64 s[0:1], vcc
	s_cbranch_execz .LBB12_14
; %bb.10:
	s_load_dwordx2 s[14:15], s[4:5], 0x70
	s_load_dwordx4 s[0:3], s[4:5], 0x60
	v_lshlrev_b32_e32 v0, 3, v0
	ds_read_b64 v[0:1], v0 offset:512
	v_ashrrev_i32_e32 v3, 31, v2
	s_waitcnt lgkmcnt(0)
	s_mul_i32 s5, s15, s7
	s_mul_hi_u32 s6, s14, s7
	s_mul_i32 s4, s14, s7
	s_add_i32 s5, s6, s5
	s_lshl_b64 s[4:5], s[4:5], 3
	v_mul_f64 v[0:1], s[10:11], v[0:1]
	s_add_u32 s4, s12, s4
	s_addc_u32 s5, s13, s5
	s_lshl_b64 s[0:1], s[0:1], 3
	s_add_u32 s0, s4, s0
	v_lshlrev_b64 v[2:3], 3, v[2:3]
	s_addc_u32 s1, s5, s1
	v_lshlrev_b32_e32 v4, 3, v6
	v_mov_b32_e32 v6, s1
	v_add_co_u32_e32 v2, vcc, s0, v2
	v_addc_co_u32_e32 v3, vcc, v6, v3, vcc
	v_cmp_gt_i32_e32 vcc, s9, v5
	s_and_saveexec_b64 s[0:1], vcc
	s_cbranch_execz .LBB12_12
; %bb.11:
	v_ashrrev_i32_e32 v8, 31, v5
	v_mul_lo_u32 v9, s3, v5
	v_mad_u64_u32 v[6:7], s[4:5], s2, v5, 0
	v_mul_lo_u32 v8, s2, v8
	ds_read_b64 v[10:11], v4
	v_add3_u32 v7, v7, v8, v9
	v_lshlrev_b64 v[6:7], 3, v[6:7]
	v_add_co_u32_e32 v6, vcc, v2, v6
	v_addc_co_u32_e32 v7, vcc, v3, v7, vcc
	global_load_dwordx2 v[8:9], v[6:7], off
	s_waitcnt vmcnt(0) lgkmcnt(0)
	v_fma_f64 v[8:9], v[0:1], v[10:11], v[8:9]
	global_store_dwordx2 v[6:7], v[8:9], off
.LBB12_12:
	s_or_b64 exec, exec, s[0:1]
	v_or_b32_e32 v5, 1, v5
	v_cmp_gt_i32_e32 vcc, s9, v5
	s_and_b64 exec, exec, vcc
	s_cbranch_execz .LBB12_14
; %bb.13:
	v_ashrrev_i32_e32 v7, 31, v5
	v_mul_lo_u32 v8, s3, v5
	v_mad_u64_u32 v[5:6], s[0:1], s2, v5, 0
	v_mul_lo_u32 v7, s2, v7
	v_add3_u32 v6, v6, v7, v8
	v_lshlrev_b64 v[5:6], 3, v[5:6]
	ds_read_b64 v[7:8], v4 offset:8
	v_add_co_u32_e32 v2, vcc, v2, v5
	v_addc_co_u32_e32 v3, vcc, v3, v6, vcc
	global_load_dwordx2 v[5:6], v[2:3], off
	s_waitcnt vmcnt(0) lgkmcnt(0)
	v_fma_f64 v[0:1], v[0:1], v[7:8], v[5:6]
	global_store_dwordx2 v[2:3], v[0:1], off
.LBB12_14:
	s_endpgm
	.section	.rodata,"a",@progbits
	.p2align	6, 0x0
	.amdhsa_kernel _ZL18rocblas_ger_kernelILi32ELi32ELi2ELb0EdPKdS1_PdEviiT4_lT5_lllS4_lllT6_lmli
		.amdhsa_group_segment_fixed_size 768
		.amdhsa_private_segment_fixed_size 0
		.amdhsa_kernarg_size 124
		.amdhsa_user_sgpr_count 6
		.amdhsa_user_sgpr_private_segment_buffer 1
		.amdhsa_user_sgpr_dispatch_ptr 0
		.amdhsa_user_sgpr_queue_ptr 0
		.amdhsa_user_sgpr_kernarg_segment_ptr 1
		.amdhsa_user_sgpr_dispatch_id 0
		.amdhsa_user_sgpr_flat_scratch_init 0
		.amdhsa_user_sgpr_private_segment_size 0
		.amdhsa_uses_dynamic_stack 0
		.amdhsa_system_sgpr_private_segment_wavefront_offset 0
		.amdhsa_system_sgpr_workgroup_id_x 1
		.amdhsa_system_sgpr_workgroup_id_y 0
		.amdhsa_system_sgpr_workgroup_id_z 1
		.amdhsa_system_sgpr_workgroup_info 0
		.amdhsa_system_vgpr_workitem_id 1
		.amdhsa_next_free_vgpr 12
		.amdhsa_next_free_sgpr 26
		.amdhsa_reserve_vcc 1
		.amdhsa_reserve_flat_scratch 0
		.amdhsa_float_round_mode_32 0
		.amdhsa_float_round_mode_16_64 0
		.amdhsa_float_denorm_mode_32 3
		.amdhsa_float_denorm_mode_16_64 3
		.amdhsa_dx10_clamp 1
		.amdhsa_ieee_mode 1
		.amdhsa_fp16_overflow 0
		.amdhsa_exception_fp_ieee_invalid_op 0
		.amdhsa_exception_fp_denorm_src 0
		.amdhsa_exception_fp_ieee_div_zero 0
		.amdhsa_exception_fp_ieee_overflow 0
		.amdhsa_exception_fp_ieee_underflow 0
		.amdhsa_exception_fp_ieee_inexact 0
		.amdhsa_exception_int_div_zero 0
	.end_amdhsa_kernel
	.section	.text._ZL18rocblas_ger_kernelILi32ELi32ELi2ELb0EdPKdS1_PdEviiT4_lT5_lllS4_lllT6_lmli,"axG",@progbits,_ZL18rocblas_ger_kernelILi32ELi32ELi2ELb0EdPKdS1_PdEviiT4_lT5_lllS4_lllT6_lmli,comdat
.Lfunc_end12:
	.size	_ZL18rocblas_ger_kernelILi32ELi32ELi2ELb0EdPKdS1_PdEviiT4_lT5_lllS4_lllT6_lmli, .Lfunc_end12-_ZL18rocblas_ger_kernelILi32ELi32ELi2ELb0EdPKdS1_PdEviiT4_lT5_lllS4_lllT6_lmli
                                        ; -- End function
	.set _ZL18rocblas_ger_kernelILi32ELi32ELi2ELb0EdPKdS1_PdEviiT4_lT5_lllS4_lllT6_lmli.num_vgpr, 12
	.set _ZL18rocblas_ger_kernelILi32ELi32ELi2ELb0EdPKdS1_PdEviiT4_lT5_lllS4_lllT6_lmli.num_agpr, 0
	.set _ZL18rocblas_ger_kernelILi32ELi32ELi2ELb0EdPKdS1_PdEviiT4_lT5_lllS4_lllT6_lmli.numbered_sgpr, 26
	.set _ZL18rocblas_ger_kernelILi32ELi32ELi2ELb0EdPKdS1_PdEviiT4_lT5_lllS4_lllT6_lmli.num_named_barrier, 0
	.set _ZL18rocblas_ger_kernelILi32ELi32ELi2ELb0EdPKdS1_PdEviiT4_lT5_lllS4_lllT6_lmli.private_seg_size, 0
	.set _ZL18rocblas_ger_kernelILi32ELi32ELi2ELb0EdPKdS1_PdEviiT4_lT5_lllS4_lllT6_lmli.uses_vcc, 1
	.set _ZL18rocblas_ger_kernelILi32ELi32ELi2ELb0EdPKdS1_PdEviiT4_lT5_lllS4_lllT6_lmli.uses_flat_scratch, 0
	.set _ZL18rocblas_ger_kernelILi32ELi32ELi2ELb0EdPKdS1_PdEviiT4_lT5_lllS4_lllT6_lmli.has_dyn_sized_stack, 0
	.set _ZL18rocblas_ger_kernelILi32ELi32ELi2ELb0EdPKdS1_PdEviiT4_lT5_lllS4_lllT6_lmli.has_recursion, 0
	.set _ZL18rocblas_ger_kernelILi32ELi32ELi2ELb0EdPKdS1_PdEviiT4_lT5_lllS4_lllT6_lmli.has_indirect_call, 0
	.section	.AMDGPU.csdata,"",@progbits
; Kernel info:
; codeLenInByte = 932
; TotalNumSgprs: 30
; NumVgprs: 12
; ScratchSize: 0
; MemoryBound: 0
; FloatMode: 240
; IeeeMode: 1
; LDSByteSize: 768 bytes/workgroup (compile time only)
; SGPRBlocks: 3
; VGPRBlocks: 2
; NumSGPRsForWavesPerEU: 30
; NumVGPRsForWavesPerEU: 12
; Occupancy: 10
; WaveLimiterHint : 0
; COMPUTE_PGM_RSRC2:SCRATCH_EN: 0
; COMPUTE_PGM_RSRC2:USER_SGPR: 6
; COMPUTE_PGM_RSRC2:TRAP_HANDLER: 0
; COMPUTE_PGM_RSRC2:TGID_X_EN: 1
; COMPUTE_PGM_RSRC2:TGID_Y_EN: 0
; COMPUTE_PGM_RSRC2:TGID_Z_EN: 1
; COMPUTE_PGM_RSRC2:TIDIG_COMP_CNT: 1
	.section	.text._ZL18rocblas_ger_kernelILi32ELi32ELi2ELb0EddPKdPdEviiT4_lT5_lllS4_lllT6_lmli,"axG",@progbits,_ZL18rocblas_ger_kernelILi32ELi32ELi2ELb0EddPKdPdEviiT4_lT5_lllS4_lllT6_lmli,comdat
	.globl	_ZL18rocblas_ger_kernelILi32ELi32ELi2ELb0EddPKdPdEviiT4_lT5_lllS4_lllT6_lmli ; -- Begin function _ZL18rocblas_ger_kernelILi32ELi32ELi2ELb0EddPKdPdEviiT4_lT5_lllS4_lllT6_lmli
	.p2align	8
	.type	_ZL18rocblas_ger_kernelILi32ELi32ELi2ELb0EddPKdPdEviiT4_lT5_lllS4_lllT6_lmli,@function
_ZL18rocblas_ger_kernelILi32ELi32ELi2ELb0EddPKdPdEviiT4_lT5_lllS4_lllT6_lmli: ; @_ZL18rocblas_ger_kernelILi32ELi32ELi2ELb0EddPKdPdEviiT4_lT5_lllS4_lllT6_lmli
; %bb.0:
	s_load_dwordx4 s[0:3], s[4:5], 0x0
	s_waitcnt lgkmcnt(0)
	s_add_i32 s8, s0, -1
	s_ashr_i32 s9, s8, 31
	s_lshr_b32 s9, s9, 27
	s_add_i32 s8, s8, s9
	s_ashr_i32 s11, s8, 5
	s_add_i32 s10, s11, 1
	v_cvt_f32_u32_e32 v2, s10
	v_cmp_eq_f64_e64 s[8:9], s[2:3], 0
	v_rcp_iflag_f32_e32 v2, v2
	v_mul_f32_e32 v2, 0x4f7ffffe, v2
	v_cvt_u32_f32_e32 v2, v2
	s_and_b64 vcc, exec, s[8:9]
	v_readfirstlane_b32 s14, v2
	s_cbranch_vccnz .LBB13_14
; %bb.1:
	s_not_b32 s11, s11
	s_mul_i32 s11, s11, s14
	s_mul_hi_u32 s11, s14, s11
	s_add_i32 s14, s14, s11
	s_mul_hi_u32 s11, s6, s14
	s_mul_i32 s14, s11, s10
	s_sub_i32 s14, s6, s14
	s_add_i32 s15, s11, 1
	s_sub_i32 s16, s14, s10
	s_cmp_ge_u32 s14, s10
	s_cselect_b32 s11, s15, s11
	s_cselect_b32 s14, s16, s14
	s_add_i32 s15, s11, 1
	s_load_dwordx2 s[12:13], s[4:5], 0x58
	s_load_dwordx2 s[8:9], s[4:5], 0x38
	s_cmp_ge_u32 s14, s10
	s_cselect_b32 s16, s15, s11
	s_mul_i32 s10, s16, s10
	s_sub_i32 s6, s6, s10
	v_lshl_add_u32 v2, s6, 5, v0
	v_cmp_eq_u32_e32 vcc, 0, v1
	s_and_saveexec_b64 s[10:11], vcc
	s_cbranch_execz .LBB13_5
; %bb.2:
	v_mov_b32_e32 v3, 0
	v_mov_b32_e32 v4, 0
	v_cmp_gt_i32_e32 vcc, s0, v2
	s_and_saveexec_b64 s[14:15], vcc
	s_cbranch_execz .LBB13_4
; %bb.3:
	s_load_dwordx2 s[18:19], s[4:5], 0x30
	s_load_dwordx2 s[24:25], s[4:5], 0x18
	s_load_dwordx4 s[20:23], s[4:5], 0x20
	v_ashrrev_i32_e32 v3, 31, v2
	s_waitcnt lgkmcnt(0)
	s_mul_i32 s6, s19, s7
	s_mul_hi_u32 s17, s18, s7
	s_mul_i32 s18, s18, s7
	s_add_i32 s19, s17, s6
	s_lshl_b64 s[18:19], s[18:19], 3
	s_add_u32 s6, s24, s18
	s_addc_u32 s17, s25, s19
	v_mul_lo_u32 v5, s23, v2
	v_mul_lo_u32 v6, s22, v3
	v_mad_u64_u32 v[3:4], s[18:19], s22, v2, 0
	s_lshl_b64 s[18:19], s[20:21], 3
	s_add_u32 s6, s6, s18
	v_add3_u32 v4, v4, v6, v5
	v_lshlrev_b64 v[3:4], 3, v[3:4]
	s_addc_u32 s17, s17, s19
	v_mov_b32_e32 v5, s17
	v_add_co_u32_e32 v3, vcc, s6, v3
	v_addc_co_u32_e32 v4, vcc, v5, v4, vcc
	global_load_dwordx2 v[3:4], v[3:4], off
.LBB13_4:
	s_or_b64 exec, exec, s[14:15]
	v_lshlrev_b32_e32 v5, 3, v0
	s_waitcnt vmcnt(0)
	ds_write_b64 v5, v[3:4] offset:512
.LBB13_5:
	s_or_b64 exec, exec, s[10:11]
	v_lshlrev_b32_e32 v6, 1, v1
	v_lshl_add_u32 v5, s16, 6, v6
	v_cmp_gt_u32_e32 vcc, 2, v0
	s_and_saveexec_b64 s[10:11], vcc
	s_cbranch_execz .LBB13_9
; %bb.6:
	v_or_b32_e32 v1, v5, v0
	v_mov_b32_e32 v3, 0
	v_mov_b32_e32 v4, 0
	v_cmp_gt_u32_e32 vcc, s1, v1
	s_and_saveexec_b64 s[14:15], vcc
	s_cbranch_execz .LBB13_8
; %bb.7:
	s_load_dwordx2 s[20:21], s[4:5], 0x50
	s_load_dwordx4 s[16:19], s[4:5], 0x40
	s_waitcnt lgkmcnt(0)
	s_mul_i32 s6, s21, s7
	s_mul_hi_u32 s21, s20, s7
	v_mad_u64_u32 v[3:4], s[22:23], s18, v1, 0
	s_mul_i32 s20, s20, s7
	s_add_i32 s21, s21, s6
	s_lshl_b64 s[20:21], s[20:21], 3
	s_add_u32 s6, s8, s20
	s_addc_u32 s18, s9, s21
	v_mad_u64_u32 v[7:8], s[8:9], s19, v1, v[4:5]
	s_lshl_b64 s[8:9], s[16:17], 3
	s_add_u32 s6, s6, s8
	v_mov_b32_e32 v4, v7
	v_lshlrev_b64 v[3:4], 3, v[3:4]
	s_addc_u32 s8, s18, s9
	v_mov_b32_e32 v1, s8
	v_add_co_u32_e32 v3, vcc, s6, v3
	v_addc_co_u32_e32 v4, vcc, v1, v4, vcc
	global_load_dwordx2 v[3:4], v[3:4], off
.LBB13_8:
	s_or_b64 exec, exec, s[14:15]
	v_lshlrev_b32_e32 v1, 3, v0
	v_lshl_add_u32 v1, v6, 3, v1
	s_waitcnt vmcnt(0)
	ds_write_b64 v1, v[3:4]
.LBB13_9:
	s_or_b64 exec, exec, s[10:11]
	v_cmp_gt_i32_e32 vcc, s0, v2
	s_waitcnt lgkmcnt(0)
	s_barrier
	s_and_saveexec_b64 s[8:9], vcc
	s_cbranch_execz .LBB13_14
; %bb.10:
	s_load_dwordx2 s[14:15], s[4:5], 0x70
	s_load_dwordx4 s[8:11], s[4:5], 0x60
	v_lshlrev_b32_e32 v0, 3, v0
	ds_read_b64 v[0:1], v0 offset:512
	v_ashrrev_i32_e32 v3, 31, v2
	s_waitcnt lgkmcnt(0)
	s_mul_i32 s0, s15, s7
	s_mul_hi_u32 s5, s14, s7
	s_mul_i32 s4, s14, s7
	s_add_i32 s5, s5, s0
	s_lshl_b64 s[4:5], s[4:5], 3
	v_mul_f64 v[0:1], s[2:3], v[0:1]
	s_add_u32 s0, s12, s4
	s_addc_u32 s6, s13, s5
	s_lshl_b64 s[4:5], s[8:9], 3
	s_add_u32 s0, s0, s4
	v_lshlrev_b64 v[2:3], 3, v[2:3]
	s_addc_u32 s4, s6, s5
	v_lshlrev_b32_e32 v4, 3, v6
	v_mov_b32_e32 v6, s4
	v_add_co_u32_e32 v2, vcc, s0, v2
	v_addc_co_u32_e32 v3, vcc, v6, v3, vcc
	v_cmp_gt_i32_e32 vcc, s1, v5
	s_and_saveexec_b64 s[2:3], vcc
	s_cbranch_execz .LBB13_12
; %bb.11:
	v_ashrrev_i32_e32 v8, 31, v5
	v_mul_lo_u32 v9, s11, v5
	v_mad_u64_u32 v[6:7], s[4:5], s10, v5, 0
	v_mul_lo_u32 v8, s10, v8
	ds_read_b64 v[10:11], v4
	v_add3_u32 v7, v7, v8, v9
	v_lshlrev_b64 v[6:7], 3, v[6:7]
	v_add_co_u32_e32 v6, vcc, v2, v6
	v_addc_co_u32_e32 v7, vcc, v3, v7, vcc
	global_load_dwordx2 v[8:9], v[6:7], off
	s_waitcnt vmcnt(0) lgkmcnt(0)
	v_fma_f64 v[8:9], v[0:1], v[10:11], v[8:9]
	global_store_dwordx2 v[6:7], v[8:9], off
.LBB13_12:
	s_or_b64 exec, exec, s[2:3]
	v_or_b32_e32 v5, 1, v5
	v_cmp_gt_i32_e32 vcc, s1, v5
	s_and_b64 exec, exec, vcc
	s_cbranch_execz .LBB13_14
; %bb.13:
	v_ashrrev_i32_e32 v7, 31, v5
	v_mul_lo_u32 v8, s11, v5
	v_mad_u64_u32 v[5:6], s[0:1], s10, v5, 0
	v_mul_lo_u32 v7, s10, v7
	v_add3_u32 v6, v6, v7, v8
	v_lshlrev_b64 v[5:6], 3, v[5:6]
	ds_read_b64 v[7:8], v4 offset:8
	v_add_co_u32_e32 v2, vcc, v2, v5
	v_addc_co_u32_e32 v3, vcc, v3, v6, vcc
	global_load_dwordx2 v[5:6], v[2:3], off
	s_waitcnt vmcnt(0) lgkmcnt(0)
	v_fma_f64 v[0:1], v[0:1], v[7:8], v[5:6]
	global_store_dwordx2 v[2:3], v[0:1], off
.LBB13_14:
	s_endpgm
	.section	.rodata,"a",@progbits
	.p2align	6, 0x0
	.amdhsa_kernel _ZL18rocblas_ger_kernelILi32ELi32ELi2ELb0EddPKdPdEviiT4_lT5_lllS4_lllT6_lmli
		.amdhsa_group_segment_fixed_size 768
		.amdhsa_private_segment_fixed_size 0
		.amdhsa_kernarg_size 124
		.amdhsa_user_sgpr_count 6
		.amdhsa_user_sgpr_private_segment_buffer 1
		.amdhsa_user_sgpr_dispatch_ptr 0
		.amdhsa_user_sgpr_queue_ptr 0
		.amdhsa_user_sgpr_kernarg_segment_ptr 1
		.amdhsa_user_sgpr_dispatch_id 0
		.amdhsa_user_sgpr_flat_scratch_init 0
		.amdhsa_user_sgpr_private_segment_size 0
		.amdhsa_uses_dynamic_stack 0
		.amdhsa_system_sgpr_private_segment_wavefront_offset 0
		.amdhsa_system_sgpr_workgroup_id_x 1
		.amdhsa_system_sgpr_workgroup_id_y 0
		.amdhsa_system_sgpr_workgroup_id_z 1
		.amdhsa_system_sgpr_workgroup_info 0
		.amdhsa_system_vgpr_workitem_id 1
		.amdhsa_next_free_vgpr 12
		.amdhsa_next_free_sgpr 26
		.amdhsa_reserve_vcc 1
		.amdhsa_reserve_flat_scratch 0
		.amdhsa_float_round_mode_32 0
		.amdhsa_float_round_mode_16_64 0
		.amdhsa_float_denorm_mode_32 3
		.amdhsa_float_denorm_mode_16_64 3
		.amdhsa_dx10_clamp 1
		.amdhsa_ieee_mode 1
		.amdhsa_fp16_overflow 0
		.amdhsa_exception_fp_ieee_invalid_op 0
		.amdhsa_exception_fp_denorm_src 0
		.amdhsa_exception_fp_ieee_div_zero 0
		.amdhsa_exception_fp_ieee_overflow 0
		.amdhsa_exception_fp_ieee_underflow 0
		.amdhsa_exception_fp_ieee_inexact 0
		.amdhsa_exception_int_div_zero 0
	.end_amdhsa_kernel
	.section	.text._ZL18rocblas_ger_kernelILi32ELi32ELi2ELb0EddPKdPdEviiT4_lT5_lllS4_lllT6_lmli,"axG",@progbits,_ZL18rocblas_ger_kernelILi32ELi32ELi2ELb0EddPKdPdEviiT4_lT5_lllS4_lllT6_lmli,comdat
.Lfunc_end13:
	.size	_ZL18rocblas_ger_kernelILi32ELi32ELi2ELb0EddPKdPdEviiT4_lT5_lllS4_lllT6_lmli, .Lfunc_end13-_ZL18rocblas_ger_kernelILi32ELi32ELi2ELb0EddPKdPdEviiT4_lT5_lllS4_lllT6_lmli
                                        ; -- End function
	.set _ZL18rocblas_ger_kernelILi32ELi32ELi2ELb0EddPKdPdEviiT4_lT5_lllS4_lllT6_lmli.num_vgpr, 12
	.set _ZL18rocblas_ger_kernelILi32ELi32ELi2ELb0EddPKdPdEviiT4_lT5_lllS4_lllT6_lmli.num_agpr, 0
	.set _ZL18rocblas_ger_kernelILi32ELi32ELi2ELb0EddPKdPdEviiT4_lT5_lllS4_lllT6_lmli.numbered_sgpr, 26
	.set _ZL18rocblas_ger_kernelILi32ELi32ELi2ELb0EddPKdPdEviiT4_lT5_lllS4_lllT6_lmli.num_named_barrier, 0
	.set _ZL18rocblas_ger_kernelILi32ELi32ELi2ELb0EddPKdPdEviiT4_lT5_lllS4_lllT6_lmli.private_seg_size, 0
	.set _ZL18rocblas_ger_kernelILi32ELi32ELi2ELb0EddPKdPdEviiT4_lT5_lllS4_lllT6_lmli.uses_vcc, 1
	.set _ZL18rocblas_ger_kernelILi32ELi32ELi2ELb0EddPKdPdEviiT4_lT5_lllS4_lllT6_lmli.uses_flat_scratch, 0
	.set _ZL18rocblas_ger_kernelILi32ELi32ELi2ELb0EddPKdPdEviiT4_lT5_lllS4_lllT6_lmli.has_dyn_sized_stack, 0
	.set _ZL18rocblas_ger_kernelILi32ELi32ELi2ELb0EddPKdPdEviiT4_lT5_lllS4_lllT6_lmli.has_recursion, 0
	.set _ZL18rocblas_ger_kernelILi32ELi32ELi2ELb0EddPKdPdEviiT4_lT5_lllS4_lllT6_lmli.has_indirect_call, 0
	.section	.AMDGPU.csdata,"",@progbits
; Kernel info:
; codeLenInByte = 884
; TotalNumSgprs: 30
; NumVgprs: 12
; ScratchSize: 0
; MemoryBound: 0
; FloatMode: 240
; IeeeMode: 1
; LDSByteSize: 768 bytes/workgroup (compile time only)
; SGPRBlocks: 3
; VGPRBlocks: 2
; NumSGPRsForWavesPerEU: 30
; NumVGPRsForWavesPerEU: 12
; Occupancy: 10
; WaveLimiterHint : 0
; COMPUTE_PGM_RSRC2:SCRATCH_EN: 0
; COMPUTE_PGM_RSRC2:USER_SGPR: 6
; COMPUTE_PGM_RSRC2:TRAP_HANDLER: 0
; COMPUTE_PGM_RSRC2:TGID_X_EN: 1
; COMPUTE_PGM_RSRC2:TGID_Y_EN: 0
; COMPUTE_PGM_RSRC2:TGID_Z_EN: 1
; COMPUTE_PGM_RSRC2:TIDIG_COMP_CNT: 1
	.section	.text._ZL34rocblas_ger_double_buffered_kernelILb0ELi64ELi16ELi2E19rocblas_complex_numIfE24rocblas_internal_val_ptrIS1_EPKS1_PS1_EvbiiT4_lT5_lllS8_lllT6_lmli,"axG",@progbits,_ZL34rocblas_ger_double_buffered_kernelILb0ELi64ELi16ELi2E19rocblas_complex_numIfE24rocblas_internal_val_ptrIS1_EPKS1_PS1_EvbiiT4_lT5_lllS8_lllT6_lmli,comdat
	.globl	_ZL34rocblas_ger_double_buffered_kernelILb0ELi64ELi16ELi2E19rocblas_complex_numIfE24rocblas_internal_val_ptrIS1_EPKS1_PS1_EvbiiT4_lT5_lllS8_lllT6_lmli ; -- Begin function _ZL34rocblas_ger_double_buffered_kernelILb0ELi64ELi16ELi2E19rocblas_complex_numIfE24rocblas_internal_val_ptrIS1_EPKS1_PS1_EvbiiT4_lT5_lllS8_lllT6_lmli
	.p2align	8
	.type	_ZL34rocblas_ger_double_buffered_kernelILb0ELi64ELi16ELi2E19rocblas_complex_numIfE24rocblas_internal_val_ptrIS1_EPKS1_PS1_EvbiiT4_lT5_lllS8_lllT6_lmli,@function
_ZL34rocblas_ger_double_buffered_kernelILb0ELi64ELi16ELi2E19rocblas_complex_numIfE24rocblas_internal_val_ptrIS1_EPKS1_PS1_EvbiiT4_lT5_lllS8_lllT6_lmli: ; @_ZL34rocblas_ger_double_buffered_kernelILb0ELi64ELi16ELi2E19rocblas_complex_numIfE24rocblas_internal_val_ptrIS1_EPKS1_PS1_EvbiiT4_lT5_lllS8_lllT6_lmli
; %bb.0:
	s_load_dword s9, s[4:5], 0x0
	s_load_dwordx4 s[0:3], s[4:5], 0x10
	s_waitcnt lgkmcnt(0)
	s_bitcmp0_b32 s9, 0
	s_cbranch_scc0 .LBB14_2
; %bb.1:
	s_mul_i32 s3, s3, s8
	s_mul_hi_u32 s9, s2, s8
	s_add_i32 s3, s9, s3
	s_mul_i32 s2, s2, s8
	s_lshl_b64 s[2:3], s[2:3], 3
	s_add_u32 s2, s0, s2
	s_addc_u32 s3, s1, s3
	s_load_dwordx2 s[10:11], s[2:3], 0x0
	s_cbranch_execz .LBB14_3
	s_branch .LBB14_4
.LBB14_2:
                                        ; implicit-def: $sgpr10
.LBB14_3:
	s_waitcnt lgkmcnt(0)
	s_mov_b32 s11, s1
	s_mov_b32 s10, s0
.LBB14_4:
	s_waitcnt lgkmcnt(0)
	v_cmp_neq_f32_e64 s[0:1], s10, 0
	v_cmp_neq_f32_e64 s[2:3], s11, 0
	s_or_b64 s[0:1], s[0:1], s[2:3]
	s_andn2_b64 vcc, exec, s[0:1]
	s_cbranch_vccnz .LBB14_6
; %bb.5:
	s_load_dwordx8 s[20:27], s[4:5], 0x58
	s_load_dwordx8 s[12:19], s[4:5], 0x38
	s_load_dwordx2 s[28:29], s[4:5], 0x78
	s_load_dwordx2 s[30:31], s[4:5], 0x20
	s_load_dwordx4 s[0:3], s[4:5], 0x28
	v_lshl_add_u32 v1, v1, 6, v0
	v_lshrrev_b32_e32 v10, 4, v1
	s_waitcnt lgkmcnt(0)
	s_mul_i32 s4, s29, s8
	s_mul_hi_u32 s5, s28, s8
	s_add_i32 s5, s5, s4
	s_mul_i32 s4, s28, s8
	s_lshl_b64 s[4:5], s[4:5], 3
	s_add_u32 s9, s22, s4
	s_addc_u32 s22, s23, s5
	s_lshl_b64 s[4:5], s[24:25], 3
	s_add_u32 s9, s9, s4
	s_addc_u32 s22, s22, s5
	s_mul_i32 s4, s21, s8
	s_mul_hi_u32 s5, s20, s8
	s_add_i32 s5, s5, s4
	s_mul_i32 s4, s20, s8
	s_lshl_b64 s[4:5], s[4:5], 3
	s_add_u32 s14, s14, s4
	s_addc_u32 s15, s15, s5
	s_lshl_b64 s[4:5], s[16:17], 3
	s_add_u32 s14, s14, s4
	s_addc_u32 s15, s15, s5
	;; [unrolled: 10-line block ×3, first 2 shown]
	s_lshl_b32 s0, s6, 6
	s_ashr_i32 s1, s0, 31
	s_lshl_b64 s[4:5], s[0:1], 3
	s_add_u32 s6, s9, s4
	s_addc_u32 s9, s22, s5
	s_lshl_b32 s7, s7, 6
	s_ashr_i32 s13, s7, 31
	s_mul_i32 s4, s26, s13
	s_mul_hi_u32 s5, s26, s7
	s_add_i32 s4, s5, s4
	s_mul_i32 s5, s27, s7
	s_add_i32 s5, s4, s5
	s_mul_i32 s4, s26, s7
	s_lshl_b64 s[4:5], s[4:5], 3
	s_add_u32 s4, s6, s4
	s_mul_i32 s1, s2, s1
	s_mul_hi_u32 s6, s2, s0
	s_addc_u32 s5, s9, s5
	s_add_i32 s1, s6, s1
	s_mul_i32 s6, s3, s0
	s_add_i32 s1, s1, s6
	s_mul_i32 s0, s2, s0
	s_lshl_b64 s[0:1], s[0:1], 3
	s_add_u32 s8, s8, s0
	v_and_b32_e32 v0, 31, v0
	s_addc_u32 s9, s12, s1
	s_mul_i32 s0, s18, s13
	s_mul_hi_u32 s1, s18, s7
	v_and_b32_e32 v9, 0x1ffe, v10
	s_add_i32 s6, s1, s0
	v_mad_u64_u32 v[1:2], s[0:1], s26, v9, 0
	v_mad_u64_u32 v[3:4], s[0:1], s2, v0, 0
	s_mul_i32 s12, s19, s7
	v_or_b32_e32 v11, 1, v10
	v_mad_u64_u32 v[5:6], s[0:1], s27, v9, v[2:3]
	v_mov_b32_e32 v2, v4
	v_mad_u64_u32 v[6:7], s[0:1], s3, v0, v[2:3]
	v_mov_b32_e32 v2, v5
	s_add_i32 s1, s6, s12
	v_mov_b32_e32 v4, v6
	v_lshlrev_b64 v[3:4], 3, v[3:4]
	s_mul_i32 s0, s18, s7
	v_mov_b32_e32 v5, s9
	v_add_co_u32_e32 v3, vcc, s8, v3
	v_lshlrev_b64 v[1:2], 3, v[1:2]
	v_mad_u64_u32 v[7:8], s[6:7], s18, v9, 0
	v_addc_co_u32_e32 v4, vcc, v5, v4, vcc
	v_mov_b32_e32 v5, s5
	v_add_co_u32_e32 v1, vcc, s4, v1
	s_lshl_b64 s[4:5], s[26:27], 3
	s_lshl_b64 s[0:1], s[0:1], 3
	s_add_u32 s6, s14, s0
	s_addc_u32 s7, s15, s1
	v_mad_u64_u32 v[8:9], s[0:1], s19, v9, v[8:9]
	v_mad_u64_u32 v[9:10], s[0:1], s18, v11, 0
	v_addc_co_u32_e32 v2, vcc, v5, v2, vcc
	v_mad_u64_u32 v[10:11], s[0:1], s19, v11, v[10:11]
	v_lshlrev_b32_e32 v5, 3, v0
	v_add_co_u32_e32 v1, vcc, v1, v5
	v_lshlrev_b64 v[7:8], 3, v[7:8]
	v_addc_co_u32_e32 v2, vcc, 0, v2, vcc
	global_load_dwordx2 v[3:4], v[3:4], off
	v_mov_b32_e32 v12, s7
	v_add_co_u32_e32 v7, vcc, s6, v7
	v_lshlrev_b64 v[9:10], 3, v[9:10]
	v_addc_co_u32_e32 v8, vcc, v12, v8, vcc
	global_load_dwordx2 v[7:8], v[7:8], off
	v_mov_b32_e32 v11, s7
	v_add_co_u32_e32 v9, vcc, s6, v9
	v_addc_co_u32_e32 v10, vcc, v11, v10, vcc
	global_load_dwordx2 v[5:6], v[1:2], off
	v_or_b32_e32 v13, 32, v0
	global_load_dwordx2 v[9:10], v[9:10], off
	v_mad_u64_u32 v[11:12], s[0:1], s2, v13, 0
	v_mov_b32_e32 v14, s5
	v_mov_b32_e32 v0, v12
	v_mad_u64_u32 v[12:13], s[0:1], s3, v13, v[0:1]
	v_mov_b32_e32 v0, s9
	v_lshlrev_b64 v[11:12], 3, v[11:12]
	v_add_co_u32_e32 v11, vcc, s8, v11
	v_addc_co_u32_e32 v12, vcc, v0, v12, vcc
	v_add_co_u32_e32 v13, vcc, s4, v1
	v_addc_co_u32_e32 v14, vcc, v2, v14, vcc
	global_load_dwordx2 v[11:12], v[11:12], off
	s_nop 0
	global_load_dwordx2 v[15:16], v[13:14], off offset:256
	global_load_dwordx2 v[17:18], v[1:2], off offset:256
	s_waitcnt vmcnt(6)
	v_mul_f32_e32 v19, s10, v4
	v_mul_f32_e32 v0, s11, v4
	v_fmac_f32_e32 v19, s11, v3
	v_fma_f32 v0, s10, v3, -v0
	s_waitcnt vmcnt(5)
	v_mul_f32_e32 v3, v19, v8
	v_fma_f32 v3, v0, v7, -v3
	v_mul_f32_e32 v4, v0, v8
	v_fmac_f32_e32 v4, v19, v7
	s_waitcnt vmcnt(4)
	v_add_f32_e32 v3, v5, v3
	v_add_f32_e32 v4, v4, v6
	s_waitcnt vmcnt(3)
	v_mul_f32_e32 v5, v19, v10
	v_fma_f32 v20, v0, v9, -v5
	global_load_dwordx2 v[5:6], v[13:14], off
	v_mul_f32_e32 v0, v0, v10
	v_fmac_f32_e32 v0, v19, v9
	s_waitcnt vmcnt(0)
	v_add_f32_e32 v6, v0, v6
	v_mul_f32_e32 v0, s11, v12
	v_mul_f32_e32 v12, s10, v12
	v_add_f32_e32 v5, v5, v20
	v_fma_f32 v0, s10, v11, -v0
	v_fmac_f32_e32 v12, s11, v11
	global_store_dwordx2 v[1:2], v[3:4], off
	global_store_dwordx2 v[13:14], v[5:6], off
	v_mul_f32_e32 v3, v12, v8
	v_mul_f32_e32 v4, v0, v8
	;; [unrolled: 1-line block ×3, first 2 shown]
	v_fma_f32 v3, v0, v7, -v3
	v_fmac_f32_e32 v4, v12, v7
	v_fma_f32 v5, v0, v9, -v5
	v_mul_f32_e32 v0, v0, v10
	v_add_f32_e32 v3, v17, v3
	v_add_f32_e32 v4, v4, v18
	v_fmac_f32_e32 v0, v12, v9
	v_add_f32_e32 v5, v15, v5
	v_add_f32_e32 v6, v0, v16
	global_store_dwordx2 v[1:2], v[3:4], off offset:256
	global_store_dwordx2 v[13:14], v[5:6], off offset:256
.LBB14_6:
	s_endpgm
	.section	.rodata,"a",@progbits
	.p2align	6, 0x0
	.amdhsa_kernel _ZL34rocblas_ger_double_buffered_kernelILb0ELi64ELi16ELi2E19rocblas_complex_numIfE24rocblas_internal_val_ptrIS1_EPKS1_PS1_EvbiiT4_lT5_lllS8_lllT6_lmli
		.amdhsa_group_segment_fixed_size 0
		.amdhsa_private_segment_fixed_size 0
		.amdhsa_kernarg_size 132
		.amdhsa_user_sgpr_count 6
		.amdhsa_user_sgpr_private_segment_buffer 1
		.amdhsa_user_sgpr_dispatch_ptr 0
		.amdhsa_user_sgpr_queue_ptr 0
		.amdhsa_user_sgpr_kernarg_segment_ptr 1
		.amdhsa_user_sgpr_dispatch_id 0
		.amdhsa_user_sgpr_flat_scratch_init 0
		.amdhsa_user_sgpr_private_segment_size 0
		.amdhsa_uses_dynamic_stack 0
		.amdhsa_system_sgpr_private_segment_wavefront_offset 0
		.amdhsa_system_sgpr_workgroup_id_x 1
		.amdhsa_system_sgpr_workgroup_id_y 1
		.amdhsa_system_sgpr_workgroup_id_z 1
		.amdhsa_system_sgpr_workgroup_info 0
		.amdhsa_system_vgpr_workitem_id 1
		.amdhsa_next_free_vgpr 21
		.amdhsa_next_free_sgpr 32
		.amdhsa_reserve_vcc 1
		.amdhsa_reserve_flat_scratch 0
		.amdhsa_float_round_mode_32 0
		.amdhsa_float_round_mode_16_64 0
		.amdhsa_float_denorm_mode_32 3
		.amdhsa_float_denorm_mode_16_64 3
		.amdhsa_dx10_clamp 1
		.amdhsa_ieee_mode 1
		.amdhsa_fp16_overflow 0
		.amdhsa_exception_fp_ieee_invalid_op 0
		.amdhsa_exception_fp_denorm_src 0
		.amdhsa_exception_fp_ieee_div_zero 0
		.amdhsa_exception_fp_ieee_overflow 0
		.amdhsa_exception_fp_ieee_underflow 0
		.amdhsa_exception_fp_ieee_inexact 0
		.amdhsa_exception_int_div_zero 0
	.end_amdhsa_kernel
	.section	.text._ZL34rocblas_ger_double_buffered_kernelILb0ELi64ELi16ELi2E19rocblas_complex_numIfE24rocblas_internal_val_ptrIS1_EPKS1_PS1_EvbiiT4_lT5_lllS8_lllT6_lmli,"axG",@progbits,_ZL34rocblas_ger_double_buffered_kernelILb0ELi64ELi16ELi2E19rocblas_complex_numIfE24rocblas_internal_val_ptrIS1_EPKS1_PS1_EvbiiT4_lT5_lllS8_lllT6_lmli,comdat
.Lfunc_end14:
	.size	_ZL34rocblas_ger_double_buffered_kernelILb0ELi64ELi16ELi2E19rocblas_complex_numIfE24rocblas_internal_val_ptrIS1_EPKS1_PS1_EvbiiT4_lT5_lllS8_lllT6_lmli, .Lfunc_end14-_ZL34rocblas_ger_double_buffered_kernelILb0ELi64ELi16ELi2E19rocblas_complex_numIfE24rocblas_internal_val_ptrIS1_EPKS1_PS1_EvbiiT4_lT5_lllS8_lllT6_lmli
                                        ; -- End function
	.set _ZL34rocblas_ger_double_buffered_kernelILb0ELi64ELi16ELi2E19rocblas_complex_numIfE24rocblas_internal_val_ptrIS1_EPKS1_PS1_EvbiiT4_lT5_lllS8_lllT6_lmli.num_vgpr, 21
	.set _ZL34rocblas_ger_double_buffered_kernelILb0ELi64ELi16ELi2E19rocblas_complex_numIfE24rocblas_internal_val_ptrIS1_EPKS1_PS1_EvbiiT4_lT5_lllS8_lllT6_lmli.num_agpr, 0
	.set _ZL34rocblas_ger_double_buffered_kernelILb0ELi64ELi16ELi2E19rocblas_complex_numIfE24rocblas_internal_val_ptrIS1_EPKS1_PS1_EvbiiT4_lT5_lllS8_lllT6_lmli.numbered_sgpr, 32
	.set _ZL34rocblas_ger_double_buffered_kernelILb0ELi64ELi16ELi2E19rocblas_complex_numIfE24rocblas_internal_val_ptrIS1_EPKS1_PS1_EvbiiT4_lT5_lllS8_lllT6_lmli.num_named_barrier, 0
	.set _ZL34rocblas_ger_double_buffered_kernelILb0ELi64ELi16ELi2E19rocblas_complex_numIfE24rocblas_internal_val_ptrIS1_EPKS1_PS1_EvbiiT4_lT5_lllS8_lllT6_lmli.private_seg_size, 0
	.set _ZL34rocblas_ger_double_buffered_kernelILb0ELi64ELi16ELi2E19rocblas_complex_numIfE24rocblas_internal_val_ptrIS1_EPKS1_PS1_EvbiiT4_lT5_lllS8_lllT6_lmli.uses_vcc, 1
	.set _ZL34rocblas_ger_double_buffered_kernelILb0ELi64ELi16ELi2E19rocblas_complex_numIfE24rocblas_internal_val_ptrIS1_EPKS1_PS1_EvbiiT4_lT5_lllS8_lllT6_lmli.uses_flat_scratch, 0
	.set _ZL34rocblas_ger_double_buffered_kernelILb0ELi64ELi16ELi2E19rocblas_complex_numIfE24rocblas_internal_val_ptrIS1_EPKS1_PS1_EvbiiT4_lT5_lllS8_lllT6_lmli.has_dyn_sized_stack, 0
	.set _ZL34rocblas_ger_double_buffered_kernelILb0ELi64ELi16ELi2E19rocblas_complex_numIfE24rocblas_internal_val_ptrIS1_EPKS1_PS1_EvbiiT4_lT5_lllS8_lllT6_lmli.has_recursion, 0
	.set _ZL34rocblas_ger_double_buffered_kernelILb0ELi64ELi16ELi2E19rocblas_complex_numIfE24rocblas_internal_val_ptrIS1_EPKS1_PS1_EvbiiT4_lT5_lllS8_lllT6_lmli.has_indirect_call, 0
	.section	.AMDGPU.csdata,"",@progbits
; Kernel info:
; codeLenInByte = 948
; TotalNumSgprs: 36
; NumVgprs: 21
; ScratchSize: 0
; MemoryBound: 0
; FloatMode: 240
; IeeeMode: 1
; LDSByteSize: 0 bytes/workgroup (compile time only)
; SGPRBlocks: 4
; VGPRBlocks: 5
; NumSGPRsForWavesPerEU: 36
; NumVGPRsForWavesPerEU: 21
; Occupancy: 10
; WaveLimiterHint : 0
; COMPUTE_PGM_RSRC2:SCRATCH_EN: 0
; COMPUTE_PGM_RSRC2:USER_SGPR: 6
; COMPUTE_PGM_RSRC2:TRAP_HANDLER: 0
; COMPUTE_PGM_RSRC2:TGID_X_EN: 1
; COMPUTE_PGM_RSRC2:TGID_Y_EN: 1
; COMPUTE_PGM_RSRC2:TGID_Z_EN: 1
; COMPUTE_PGM_RSRC2:TIDIG_COMP_CNT: 1
	.section	.text._ZL26rocblas_sger_gfx942_kernelILi256E19rocblas_complex_numIfEPKS1_S3_PS1_EviiT1_lT2_lllS6_lllT3_lll,"axG",@progbits,_ZL26rocblas_sger_gfx942_kernelILi256E19rocblas_complex_numIfEPKS1_S3_PS1_EviiT1_lT2_lllS6_lllT3_lll,comdat
	.globl	_ZL26rocblas_sger_gfx942_kernelILi256E19rocblas_complex_numIfEPKS1_S3_PS1_EviiT1_lT2_lllS6_lllT3_lll ; -- Begin function _ZL26rocblas_sger_gfx942_kernelILi256E19rocblas_complex_numIfEPKS1_S3_PS1_EviiT1_lT2_lllS6_lllT3_lll
	.p2align	8
	.type	_ZL26rocblas_sger_gfx942_kernelILi256E19rocblas_complex_numIfEPKS1_S3_PS1_EviiT1_lT2_lllS6_lllT3_lll,@function
_ZL26rocblas_sger_gfx942_kernelILi256E19rocblas_complex_numIfEPKS1_S3_PS1_EviiT1_lT2_lllS6_lllT3_lll: ; @_ZL26rocblas_sger_gfx942_kernelILi256E19rocblas_complex_numIfEPKS1_S3_PS1_EviiT1_lT2_lllS6_lllT3_lll
; %bb.0:
	s_endpgm
	.section	.rodata,"a",@progbits
	.p2align	6, 0x0
	.amdhsa_kernel _ZL26rocblas_sger_gfx942_kernelILi256E19rocblas_complex_numIfEPKS1_S3_PS1_EviiT1_lT2_lllS6_lllT3_lll
		.amdhsa_group_segment_fixed_size 0
		.amdhsa_private_segment_fixed_size 0
		.amdhsa_kernarg_size 120
		.amdhsa_user_sgpr_count 6
		.amdhsa_user_sgpr_private_segment_buffer 1
		.amdhsa_user_sgpr_dispatch_ptr 0
		.amdhsa_user_sgpr_queue_ptr 0
		.amdhsa_user_sgpr_kernarg_segment_ptr 1
		.amdhsa_user_sgpr_dispatch_id 0
		.amdhsa_user_sgpr_flat_scratch_init 0
		.amdhsa_user_sgpr_private_segment_size 0
		.amdhsa_uses_dynamic_stack 0
		.amdhsa_system_sgpr_private_segment_wavefront_offset 0
		.amdhsa_system_sgpr_workgroup_id_x 1
		.amdhsa_system_sgpr_workgroup_id_y 0
		.amdhsa_system_sgpr_workgroup_id_z 0
		.amdhsa_system_sgpr_workgroup_info 0
		.amdhsa_system_vgpr_workitem_id 0
		.amdhsa_next_free_vgpr 1
		.amdhsa_next_free_sgpr 0
		.amdhsa_reserve_vcc 0
		.amdhsa_reserve_flat_scratch 0
		.amdhsa_float_round_mode_32 0
		.amdhsa_float_round_mode_16_64 0
		.amdhsa_float_denorm_mode_32 3
		.amdhsa_float_denorm_mode_16_64 3
		.amdhsa_dx10_clamp 1
		.amdhsa_ieee_mode 1
		.amdhsa_fp16_overflow 0
		.amdhsa_exception_fp_ieee_invalid_op 0
		.amdhsa_exception_fp_denorm_src 0
		.amdhsa_exception_fp_ieee_div_zero 0
		.amdhsa_exception_fp_ieee_overflow 0
		.amdhsa_exception_fp_ieee_underflow 0
		.amdhsa_exception_fp_ieee_inexact 0
		.amdhsa_exception_int_div_zero 0
	.end_amdhsa_kernel
	.section	.text._ZL26rocblas_sger_gfx942_kernelILi256E19rocblas_complex_numIfEPKS1_S3_PS1_EviiT1_lT2_lllS6_lllT3_lll,"axG",@progbits,_ZL26rocblas_sger_gfx942_kernelILi256E19rocblas_complex_numIfEPKS1_S3_PS1_EviiT1_lT2_lllS6_lllT3_lll,comdat
.Lfunc_end15:
	.size	_ZL26rocblas_sger_gfx942_kernelILi256E19rocblas_complex_numIfEPKS1_S3_PS1_EviiT1_lT2_lllS6_lllT3_lll, .Lfunc_end15-_ZL26rocblas_sger_gfx942_kernelILi256E19rocblas_complex_numIfEPKS1_S3_PS1_EviiT1_lT2_lllS6_lllT3_lll
                                        ; -- End function
	.set _ZL26rocblas_sger_gfx942_kernelILi256E19rocblas_complex_numIfEPKS1_S3_PS1_EviiT1_lT2_lllS6_lllT3_lll.num_vgpr, 0
	.set _ZL26rocblas_sger_gfx942_kernelILi256E19rocblas_complex_numIfEPKS1_S3_PS1_EviiT1_lT2_lllS6_lllT3_lll.num_agpr, 0
	.set _ZL26rocblas_sger_gfx942_kernelILi256E19rocblas_complex_numIfEPKS1_S3_PS1_EviiT1_lT2_lllS6_lllT3_lll.numbered_sgpr, 0
	.set _ZL26rocblas_sger_gfx942_kernelILi256E19rocblas_complex_numIfEPKS1_S3_PS1_EviiT1_lT2_lllS6_lllT3_lll.num_named_barrier, 0
	.set _ZL26rocblas_sger_gfx942_kernelILi256E19rocblas_complex_numIfEPKS1_S3_PS1_EviiT1_lT2_lllS6_lllT3_lll.private_seg_size, 0
	.set _ZL26rocblas_sger_gfx942_kernelILi256E19rocblas_complex_numIfEPKS1_S3_PS1_EviiT1_lT2_lllS6_lllT3_lll.uses_vcc, 0
	.set _ZL26rocblas_sger_gfx942_kernelILi256E19rocblas_complex_numIfEPKS1_S3_PS1_EviiT1_lT2_lllS6_lllT3_lll.uses_flat_scratch, 0
	.set _ZL26rocblas_sger_gfx942_kernelILi256E19rocblas_complex_numIfEPKS1_S3_PS1_EviiT1_lT2_lllS6_lllT3_lll.has_dyn_sized_stack, 0
	.set _ZL26rocblas_sger_gfx942_kernelILi256E19rocblas_complex_numIfEPKS1_S3_PS1_EviiT1_lT2_lllS6_lllT3_lll.has_recursion, 0
	.set _ZL26rocblas_sger_gfx942_kernelILi256E19rocblas_complex_numIfEPKS1_S3_PS1_EviiT1_lT2_lllS6_lllT3_lll.has_indirect_call, 0
	.section	.AMDGPU.csdata,"",@progbits
; Kernel info:
; codeLenInByte = 4
; TotalNumSgprs: 4
; NumVgprs: 0
; ScratchSize: 0
; MemoryBound: 0
; FloatMode: 240
; IeeeMode: 1
; LDSByteSize: 0 bytes/workgroup (compile time only)
; SGPRBlocks: 0
; VGPRBlocks: 0
; NumSGPRsForWavesPerEU: 4
; NumVGPRsForWavesPerEU: 1
; Occupancy: 10
; WaveLimiterHint : 0
; COMPUTE_PGM_RSRC2:SCRATCH_EN: 0
; COMPUTE_PGM_RSRC2:USER_SGPR: 6
; COMPUTE_PGM_RSRC2:TRAP_HANDLER: 0
; COMPUTE_PGM_RSRC2:TGID_X_EN: 1
; COMPUTE_PGM_RSRC2:TGID_Y_EN: 0
; COMPUTE_PGM_RSRC2:TGID_Z_EN: 0
; COMPUTE_PGM_RSRC2:TIDIG_COMP_CNT: 0
	.section	.text._ZL26rocblas_sger_gfx942_kernelILi256E19rocblas_complex_numIfES1_PKS1_PS1_EviiT1_lT2_lllS6_lllT3_lll,"axG",@progbits,_ZL26rocblas_sger_gfx942_kernelILi256E19rocblas_complex_numIfES1_PKS1_PS1_EviiT1_lT2_lllS6_lllT3_lll,comdat
	.globl	_ZL26rocblas_sger_gfx942_kernelILi256E19rocblas_complex_numIfES1_PKS1_PS1_EviiT1_lT2_lllS6_lllT3_lll ; -- Begin function _ZL26rocblas_sger_gfx942_kernelILi256E19rocblas_complex_numIfES1_PKS1_PS1_EviiT1_lT2_lllS6_lllT3_lll
	.p2align	8
	.type	_ZL26rocblas_sger_gfx942_kernelILi256E19rocblas_complex_numIfES1_PKS1_PS1_EviiT1_lT2_lllS6_lllT3_lll,@function
_ZL26rocblas_sger_gfx942_kernelILi256E19rocblas_complex_numIfES1_PKS1_PS1_EviiT1_lT2_lllS6_lllT3_lll: ; @_ZL26rocblas_sger_gfx942_kernelILi256E19rocblas_complex_numIfES1_PKS1_PS1_EviiT1_lT2_lllS6_lllT3_lll
; %bb.0:
	s_endpgm
	.section	.rodata,"a",@progbits
	.p2align	6, 0x0
	.amdhsa_kernel _ZL26rocblas_sger_gfx942_kernelILi256E19rocblas_complex_numIfES1_PKS1_PS1_EviiT1_lT2_lllS6_lllT3_lll
		.amdhsa_group_segment_fixed_size 0
		.amdhsa_private_segment_fixed_size 0
		.amdhsa_kernarg_size 120
		.amdhsa_user_sgpr_count 6
		.amdhsa_user_sgpr_private_segment_buffer 1
		.amdhsa_user_sgpr_dispatch_ptr 0
		.amdhsa_user_sgpr_queue_ptr 0
		.amdhsa_user_sgpr_kernarg_segment_ptr 1
		.amdhsa_user_sgpr_dispatch_id 0
		.amdhsa_user_sgpr_flat_scratch_init 0
		.amdhsa_user_sgpr_private_segment_size 0
		.amdhsa_uses_dynamic_stack 0
		.amdhsa_system_sgpr_private_segment_wavefront_offset 0
		.amdhsa_system_sgpr_workgroup_id_x 1
		.amdhsa_system_sgpr_workgroup_id_y 0
		.amdhsa_system_sgpr_workgroup_id_z 0
		.amdhsa_system_sgpr_workgroup_info 0
		.amdhsa_system_vgpr_workitem_id 0
		.amdhsa_next_free_vgpr 1
		.amdhsa_next_free_sgpr 0
		.amdhsa_reserve_vcc 0
		.amdhsa_reserve_flat_scratch 0
		.amdhsa_float_round_mode_32 0
		.amdhsa_float_round_mode_16_64 0
		.amdhsa_float_denorm_mode_32 3
		.amdhsa_float_denorm_mode_16_64 3
		.amdhsa_dx10_clamp 1
		.amdhsa_ieee_mode 1
		.amdhsa_fp16_overflow 0
		.amdhsa_exception_fp_ieee_invalid_op 0
		.amdhsa_exception_fp_denorm_src 0
		.amdhsa_exception_fp_ieee_div_zero 0
		.amdhsa_exception_fp_ieee_overflow 0
		.amdhsa_exception_fp_ieee_underflow 0
		.amdhsa_exception_fp_ieee_inexact 0
		.amdhsa_exception_int_div_zero 0
	.end_amdhsa_kernel
	.section	.text._ZL26rocblas_sger_gfx942_kernelILi256E19rocblas_complex_numIfES1_PKS1_PS1_EviiT1_lT2_lllS6_lllT3_lll,"axG",@progbits,_ZL26rocblas_sger_gfx942_kernelILi256E19rocblas_complex_numIfES1_PKS1_PS1_EviiT1_lT2_lllS6_lllT3_lll,comdat
.Lfunc_end16:
	.size	_ZL26rocblas_sger_gfx942_kernelILi256E19rocblas_complex_numIfES1_PKS1_PS1_EviiT1_lT2_lllS6_lllT3_lll, .Lfunc_end16-_ZL26rocblas_sger_gfx942_kernelILi256E19rocblas_complex_numIfES1_PKS1_PS1_EviiT1_lT2_lllS6_lllT3_lll
                                        ; -- End function
	.set _ZL26rocblas_sger_gfx942_kernelILi256E19rocblas_complex_numIfES1_PKS1_PS1_EviiT1_lT2_lllS6_lllT3_lll.num_vgpr, 0
	.set _ZL26rocblas_sger_gfx942_kernelILi256E19rocblas_complex_numIfES1_PKS1_PS1_EviiT1_lT2_lllS6_lllT3_lll.num_agpr, 0
	.set _ZL26rocblas_sger_gfx942_kernelILi256E19rocblas_complex_numIfES1_PKS1_PS1_EviiT1_lT2_lllS6_lllT3_lll.numbered_sgpr, 0
	.set _ZL26rocblas_sger_gfx942_kernelILi256E19rocblas_complex_numIfES1_PKS1_PS1_EviiT1_lT2_lllS6_lllT3_lll.num_named_barrier, 0
	.set _ZL26rocblas_sger_gfx942_kernelILi256E19rocblas_complex_numIfES1_PKS1_PS1_EviiT1_lT2_lllS6_lllT3_lll.private_seg_size, 0
	.set _ZL26rocblas_sger_gfx942_kernelILi256E19rocblas_complex_numIfES1_PKS1_PS1_EviiT1_lT2_lllS6_lllT3_lll.uses_vcc, 0
	.set _ZL26rocblas_sger_gfx942_kernelILi256E19rocblas_complex_numIfES1_PKS1_PS1_EviiT1_lT2_lllS6_lllT3_lll.uses_flat_scratch, 0
	.set _ZL26rocblas_sger_gfx942_kernelILi256E19rocblas_complex_numIfES1_PKS1_PS1_EviiT1_lT2_lllS6_lllT3_lll.has_dyn_sized_stack, 0
	.set _ZL26rocblas_sger_gfx942_kernelILi256E19rocblas_complex_numIfES1_PKS1_PS1_EviiT1_lT2_lllS6_lllT3_lll.has_recursion, 0
	.set _ZL26rocblas_sger_gfx942_kernelILi256E19rocblas_complex_numIfES1_PKS1_PS1_EviiT1_lT2_lllS6_lllT3_lll.has_indirect_call, 0
	.section	.AMDGPU.csdata,"",@progbits
; Kernel info:
; codeLenInByte = 4
; TotalNumSgprs: 4
; NumVgprs: 0
; ScratchSize: 0
; MemoryBound: 0
; FloatMode: 240
; IeeeMode: 1
; LDSByteSize: 0 bytes/workgroup (compile time only)
; SGPRBlocks: 0
; VGPRBlocks: 0
; NumSGPRsForWavesPerEU: 4
; NumVGPRsForWavesPerEU: 1
; Occupancy: 10
; WaveLimiterHint : 0
; COMPUTE_PGM_RSRC2:SCRATCH_EN: 0
; COMPUTE_PGM_RSRC2:USER_SGPR: 6
; COMPUTE_PGM_RSRC2:TRAP_HANDLER: 0
; COMPUTE_PGM_RSRC2:TGID_X_EN: 1
; COMPUTE_PGM_RSRC2:TGID_Y_EN: 0
; COMPUTE_PGM_RSRC2:TGID_Z_EN: 0
; COMPUTE_PGM_RSRC2:TIDIG_COMP_CNT: 0
	.section	.text._ZL19rocblas_sger_kernelILi1024E19rocblas_complex_numIfEPKS1_S3_PS1_EviiT1_lT2_lllS6_lllT3_lmli,"axG",@progbits,_ZL19rocblas_sger_kernelILi1024E19rocblas_complex_numIfEPKS1_S3_PS1_EviiT1_lT2_lllS6_lllT3_lmli,comdat
	.globl	_ZL19rocblas_sger_kernelILi1024E19rocblas_complex_numIfEPKS1_S3_PS1_EviiT1_lT2_lllS6_lllT3_lmli ; -- Begin function _ZL19rocblas_sger_kernelILi1024E19rocblas_complex_numIfEPKS1_S3_PS1_EviiT1_lT2_lllS6_lllT3_lmli
	.p2align	8
	.type	_ZL19rocblas_sger_kernelILi1024E19rocblas_complex_numIfEPKS1_S3_PS1_EviiT1_lT2_lllS6_lllT3_lmli,@function
_ZL19rocblas_sger_kernelILi1024E19rocblas_complex_numIfEPKS1_S3_PS1_EviiT1_lT2_lllS6_lllT3_lmli: ; @_ZL19rocblas_sger_kernelILi1024E19rocblas_complex_numIfEPKS1_S3_PS1_EviiT1_lT2_lllS6_lllT3_lmli
; %bb.0:
	s_load_dwordx4 s[0:3], s[4:5], 0x8
	s_waitcnt lgkmcnt(0)
	s_mul_i32 s3, s3, s7
	s_mul_hi_u32 s8, s2, s7
	s_add_i32 s3, s8, s3
	s_mul_i32 s2, s2, s7
	s_lshl_b64 s[2:3], s[2:3], 3
	s_add_u32 s0, s0, s2
	s_addc_u32 s1, s1, s3
	s_load_dwordx2 s[24:25], s[0:1], 0x0
	s_waitcnt lgkmcnt(0)
	v_cmp_neq_f32_e64 s[0:1], s24, 0
	v_cmp_neq_f32_e64 s[2:3], s25, 0
	s_or_b64 s[0:1], s[0:1], s[2:3]
	s_andn2_b64 vcc, exec, s[0:1]
	s_cbranch_vccnz .LBB17_4
; %bb.1:
	s_load_dword s26, s[4:5], 0x0
	s_waitcnt lgkmcnt(0)
	v_cmp_gt_i32_e32 vcc, s26, v0
	s_and_saveexec_b64 s[0:1], vcc
	s_cbranch_execz .LBB17_4
; %bb.2:
	s_load_dwordx8 s[16:23], s[4:5], 0x50
	s_load_dwordx8 s[8:15], s[4:5], 0x30
	v_cndmask_b32_e32 v1, 0, v0, vcc
	v_lshlrev_b32_e32 v1, 3, v1
	s_waitcnt lgkmcnt(0)
	s_mul_i32 s1, s17, s7
	s_mul_hi_u32 s2, s16, s7
	s_mul_i32 s0, s16, s7
	s_add_i32 s1, s2, s1
	s_lshl_b64 s[0:1], s[0:1], 3
	s_add_u32 s2, s10, s0
	s_addc_u32 s3, s11, s1
	s_lshl_b64 s[0:1], s[12:13], 3
	s_add_u32 s2, s2, s0
	s_addc_u32 s3, s3, s1
	s_ashr_i32 s16, s6, 31
	s_mul_hi_u32 s0, s14, s6
	s_mul_i32 s1, s14, s16
	s_add_i32 s0, s0, s1
	s_mul_i32 s1, s15, s6
	s_add_i32 s1, s0, s1
	s_mul_i32 s0, s14, s6
	s_lshl_b64 s[0:1], s[0:1], 3
	s_add_u32 s10, s2, s0
	s_addc_u32 s11, s3, s1
	s_load_dwordx2 s[12:13], s[10:11], 0x0
	s_load_dwordx2 s[14:15], s[4:5], 0x18
	s_load_dwordx4 s[0:3], s[4:5], 0x20
	s_mul_hi_u32 s10, s22, s6
	s_load_dwordx2 s[4:5], s[4:5], 0x70
	s_mul_i32 s11, s22, s16
	s_add_i32 s10, s10, s11
	s_mul_i32 s11, s23, s6
	s_add_i32 s11, s10, s11
	s_mul_i32 s10, s22, s6
	s_waitcnt lgkmcnt(0)
	s_mul_i32 s5, s5, s7
	s_mul_hi_u32 s6, s4, s7
	s_add_i32 s5, s6, s5
	s_mul_i32 s4, s4, s7
	s_lshl_b64 s[10:11], s[10:11], 3
	s_lshl_b64 s[4:5], s[4:5], 3
	s_add_u32 s6, s10, s4
	s_addc_u32 s10, s11, s5
	s_lshl_b64 s[4:5], s[20:21], 3
	s_add_u32 s4, s6, s4
	s_addc_u32 s5, s10, s5
	v_mov_b32_e32 v2, s13
	s_add_u32 s4, s18, s4
	v_mul_f32_e32 v3, s25, v2
	v_mov_b32_e32 v4, s12
	v_mul_f32_e32 v6, s24, v2
	s_addc_u32 s5, s19, s5
	v_fma_f32 v5, s24, v4, -v3
	v_fmac_f32_e32 v6, s25, v4
	v_mov_b32_e32 v2, s5
	v_add_co_u32_e32 v1, vcc, s4, v1
	v_mad_u64_u32 v[3:4], s[4:5], s2, v0, 0
	s_mul_i32 s6, s9, s7
	s_mul_hi_u32 s9, s8, s7
	v_mad_u64_u32 v[7:8], s[4:5], s3, v0, v[4:5]
	s_add_i32 s5, s9, s6
	s_mul_i32 s4, s8, s7
	s_lshl_b64 s[4:5], s[4:5], 3
	s_lshl_b64 s[0:1], s[0:1], 3
	s_add_u32 s0, s14, s0
	v_addc_co_u32_e32 v2, vcc, 0, v2, vcc
	v_mov_b32_e32 v4, v7
	s_addc_u32 s1, s15, s1
	v_add_co_u32_e32 v1, vcc, 4, v1
	v_lshlrev_b64 v[3:4], 3, v[3:4]
	s_add_u32 s0, s0, s4
	v_addc_co_u32_e32 v2, vcc, 0, v2, vcc
	s_addc_u32 s1, s1, s5
	v_mov_b32_e32 v7, s1
	v_add_co_u32_e32 v3, vcc, s0, v3
	v_addc_co_u32_e32 v4, vcc, v7, v4, vcc
	v_add_co_u32_e32 v3, vcc, 4, v3
	s_lshl_b64 s[0:1], s[2:3], 13
	v_addc_co_u32_e32 v4, vcc, 0, v4, vcc
	s_mov_b64 s[2:3], 0
	v_mov_b32_e32 v7, s1
.LBB17_3:                               ; =>This Inner Loop Header: Depth=1
	global_load_dwordx2 v[8:9], v[3:4], off offset:-4
	global_load_dwordx2 v[10:11], v[1:2], off offset:-4
	v_add_co_u32_e32 v3, vcc, s0, v3
	v_addc_co_u32_e32 v4, vcc, v4, v7, vcc
	v_add_u32_e32 v0, 0x400, v0
	v_cmp_le_i32_e32 vcc, s26, v0
	s_or_b64 s[2:3], vcc, s[2:3]
	s_waitcnt vmcnt(1)
	v_mul_f32_e32 v12, v6, v9
	v_mul_f32_e32 v9, v5, v9
	v_fma_f32 v12, v5, v8, -v12
	v_fmac_f32_e32 v9, v6, v8
	s_waitcnt vmcnt(0)
	v_add_f32_e32 v8, v10, v12
	v_add_f32_e32 v9, v9, v11
	global_store_dwordx2 v[1:2], v[8:9], off offset:-4
	v_add_co_u32_e32 v1, vcc, 0x2000, v1
	v_addc_co_u32_e32 v2, vcc, 0, v2, vcc
	s_andn2_b64 exec, exec, s[2:3]
	s_cbranch_execnz .LBB17_3
.LBB17_4:
	s_endpgm
	.section	.rodata,"a",@progbits
	.p2align	6, 0x0
	.amdhsa_kernel _ZL19rocblas_sger_kernelILi1024E19rocblas_complex_numIfEPKS1_S3_PS1_EviiT1_lT2_lllS6_lllT3_lmli
		.amdhsa_group_segment_fixed_size 0
		.amdhsa_private_segment_fixed_size 0
		.amdhsa_kernarg_size 124
		.amdhsa_user_sgpr_count 6
		.amdhsa_user_sgpr_private_segment_buffer 1
		.amdhsa_user_sgpr_dispatch_ptr 0
		.amdhsa_user_sgpr_queue_ptr 0
		.amdhsa_user_sgpr_kernarg_segment_ptr 1
		.amdhsa_user_sgpr_dispatch_id 0
		.amdhsa_user_sgpr_flat_scratch_init 0
		.amdhsa_user_sgpr_private_segment_size 0
		.amdhsa_uses_dynamic_stack 0
		.amdhsa_system_sgpr_private_segment_wavefront_offset 0
		.amdhsa_system_sgpr_workgroup_id_x 1
		.amdhsa_system_sgpr_workgroup_id_y 0
		.amdhsa_system_sgpr_workgroup_id_z 1
		.amdhsa_system_sgpr_workgroup_info 0
		.amdhsa_system_vgpr_workitem_id 0
		.amdhsa_next_free_vgpr 13
		.amdhsa_next_free_sgpr 27
		.amdhsa_reserve_vcc 1
		.amdhsa_reserve_flat_scratch 0
		.amdhsa_float_round_mode_32 0
		.amdhsa_float_round_mode_16_64 0
		.amdhsa_float_denorm_mode_32 3
		.amdhsa_float_denorm_mode_16_64 3
		.amdhsa_dx10_clamp 1
		.amdhsa_ieee_mode 1
		.amdhsa_fp16_overflow 0
		.amdhsa_exception_fp_ieee_invalid_op 0
		.amdhsa_exception_fp_denorm_src 0
		.amdhsa_exception_fp_ieee_div_zero 0
		.amdhsa_exception_fp_ieee_overflow 0
		.amdhsa_exception_fp_ieee_underflow 0
		.amdhsa_exception_fp_ieee_inexact 0
		.amdhsa_exception_int_div_zero 0
	.end_amdhsa_kernel
	.section	.text._ZL19rocblas_sger_kernelILi1024E19rocblas_complex_numIfEPKS1_S3_PS1_EviiT1_lT2_lllS6_lllT3_lmli,"axG",@progbits,_ZL19rocblas_sger_kernelILi1024E19rocblas_complex_numIfEPKS1_S3_PS1_EviiT1_lT2_lllS6_lllT3_lmli,comdat
.Lfunc_end17:
	.size	_ZL19rocblas_sger_kernelILi1024E19rocblas_complex_numIfEPKS1_S3_PS1_EviiT1_lT2_lllS6_lllT3_lmli, .Lfunc_end17-_ZL19rocblas_sger_kernelILi1024E19rocblas_complex_numIfEPKS1_S3_PS1_EviiT1_lT2_lllS6_lllT3_lmli
                                        ; -- End function
	.set _ZL19rocblas_sger_kernelILi1024E19rocblas_complex_numIfEPKS1_S3_PS1_EviiT1_lT2_lllS6_lllT3_lmli.num_vgpr, 13
	.set _ZL19rocblas_sger_kernelILi1024E19rocblas_complex_numIfEPKS1_S3_PS1_EviiT1_lT2_lllS6_lllT3_lmli.num_agpr, 0
	.set _ZL19rocblas_sger_kernelILi1024E19rocblas_complex_numIfEPKS1_S3_PS1_EviiT1_lT2_lllS6_lllT3_lmli.numbered_sgpr, 27
	.set _ZL19rocblas_sger_kernelILi1024E19rocblas_complex_numIfEPKS1_S3_PS1_EviiT1_lT2_lllS6_lllT3_lmli.num_named_barrier, 0
	.set _ZL19rocblas_sger_kernelILi1024E19rocblas_complex_numIfEPKS1_S3_PS1_EviiT1_lT2_lllS6_lllT3_lmli.private_seg_size, 0
	.set _ZL19rocblas_sger_kernelILi1024E19rocblas_complex_numIfEPKS1_S3_PS1_EviiT1_lT2_lllS6_lllT3_lmli.uses_vcc, 1
	.set _ZL19rocblas_sger_kernelILi1024E19rocblas_complex_numIfEPKS1_S3_PS1_EviiT1_lT2_lllS6_lllT3_lmli.uses_flat_scratch, 0
	.set _ZL19rocblas_sger_kernelILi1024E19rocblas_complex_numIfEPKS1_S3_PS1_EviiT1_lT2_lllS6_lllT3_lmli.has_dyn_sized_stack, 0
	.set _ZL19rocblas_sger_kernelILi1024E19rocblas_complex_numIfEPKS1_S3_PS1_EviiT1_lT2_lllS6_lllT3_lmli.has_recursion, 0
	.set _ZL19rocblas_sger_kernelILi1024E19rocblas_complex_numIfEPKS1_S3_PS1_EviiT1_lT2_lllS6_lllT3_lmli.has_indirect_call, 0
	.section	.AMDGPU.csdata,"",@progbits
; Kernel info:
; codeLenInByte = 580
; TotalNumSgprs: 31
; NumVgprs: 13
; ScratchSize: 0
; MemoryBound: 0
; FloatMode: 240
; IeeeMode: 1
; LDSByteSize: 0 bytes/workgroup (compile time only)
; SGPRBlocks: 3
; VGPRBlocks: 3
; NumSGPRsForWavesPerEU: 31
; NumVGPRsForWavesPerEU: 13
; Occupancy: 10
; WaveLimiterHint : 0
; COMPUTE_PGM_RSRC2:SCRATCH_EN: 0
; COMPUTE_PGM_RSRC2:USER_SGPR: 6
; COMPUTE_PGM_RSRC2:TRAP_HANDLER: 0
; COMPUTE_PGM_RSRC2:TGID_X_EN: 1
; COMPUTE_PGM_RSRC2:TGID_Y_EN: 0
; COMPUTE_PGM_RSRC2:TGID_Z_EN: 1
; COMPUTE_PGM_RSRC2:TIDIG_COMP_CNT: 0
	.section	.text._ZL19rocblas_sger_kernelILi1024E19rocblas_complex_numIfES1_PKS1_PS1_EviiT1_lT2_lllS6_lllT3_lmli,"axG",@progbits,_ZL19rocblas_sger_kernelILi1024E19rocblas_complex_numIfES1_PKS1_PS1_EviiT1_lT2_lllS6_lllT3_lmli,comdat
	.globl	_ZL19rocblas_sger_kernelILi1024E19rocblas_complex_numIfES1_PKS1_PS1_EviiT1_lT2_lllS6_lllT3_lmli ; -- Begin function _ZL19rocblas_sger_kernelILi1024E19rocblas_complex_numIfES1_PKS1_PS1_EviiT1_lT2_lllS6_lllT3_lmli
	.p2align	8
	.type	_ZL19rocblas_sger_kernelILi1024E19rocblas_complex_numIfES1_PKS1_PS1_EviiT1_lT2_lllS6_lllT3_lmli,@function
_ZL19rocblas_sger_kernelILi1024E19rocblas_complex_numIfES1_PKS1_PS1_EviiT1_lT2_lllS6_lllT3_lmli: ; @_ZL19rocblas_sger_kernelILi1024E19rocblas_complex_numIfES1_PKS1_PS1_EviiT1_lT2_lllS6_lllT3_lmli
; %bb.0:
	s_load_dwordx2 s[24:25], s[4:5], 0x8
	s_waitcnt lgkmcnt(0)
	v_cmp_neq_f32_e64 s[0:1], s24, 0
	v_cmp_neq_f32_e64 s[2:3], s25, 0
	s_or_b64 s[0:1], s[0:1], s[2:3]
	s_andn2_b64 vcc, exec, s[0:1]
	s_cbranch_vccnz .LBB18_4
; %bb.1:
	s_load_dword s26, s[4:5], 0x0
	s_waitcnt lgkmcnt(0)
	v_cmp_gt_i32_e32 vcc, s26, v0
	s_and_saveexec_b64 s[0:1], vcc
	s_cbranch_execz .LBB18_4
; %bb.2:
	s_load_dwordx8 s[16:23], s[4:5], 0x50
	s_load_dwordx8 s[8:15], s[4:5], 0x30
	v_cndmask_b32_e32 v1, 0, v0, vcc
	v_lshlrev_b32_e32 v1, 3, v1
	s_waitcnt lgkmcnt(0)
	s_mul_i32 s1, s17, s7
	s_mul_hi_u32 s2, s16, s7
	s_mul_i32 s0, s16, s7
	s_add_i32 s1, s2, s1
	s_lshl_b64 s[0:1], s[0:1], 3
	s_add_u32 s2, s10, s0
	s_addc_u32 s3, s11, s1
	s_lshl_b64 s[0:1], s[12:13], 3
	s_add_u32 s2, s2, s0
	s_addc_u32 s3, s3, s1
	s_ashr_i32 s16, s6, 31
	s_mul_hi_u32 s0, s14, s6
	s_mul_i32 s1, s14, s16
	s_add_i32 s0, s0, s1
	s_mul_i32 s1, s15, s6
	s_add_i32 s1, s0, s1
	s_mul_i32 s0, s14, s6
	s_lshl_b64 s[0:1], s[0:1], 3
	s_add_u32 s10, s2, s0
	s_addc_u32 s11, s3, s1
	s_load_dwordx2 s[12:13], s[10:11], 0x0
	s_load_dwordx2 s[14:15], s[4:5], 0x18
	s_load_dwordx4 s[0:3], s[4:5], 0x20
	s_mul_hi_u32 s10, s22, s6
	s_load_dwordx2 s[4:5], s[4:5], 0x70
	s_mul_i32 s11, s22, s16
	s_add_i32 s10, s10, s11
	s_mul_i32 s11, s23, s6
	s_add_i32 s11, s10, s11
	s_mul_i32 s10, s22, s6
	s_waitcnt lgkmcnt(0)
	s_mul_i32 s5, s5, s7
	s_mul_hi_u32 s6, s4, s7
	s_add_i32 s5, s6, s5
	s_mul_i32 s4, s4, s7
	s_lshl_b64 s[10:11], s[10:11], 3
	s_lshl_b64 s[4:5], s[4:5], 3
	s_add_u32 s6, s10, s4
	s_addc_u32 s10, s11, s5
	s_lshl_b64 s[4:5], s[20:21], 3
	s_add_u32 s4, s6, s4
	s_addc_u32 s5, s10, s5
	v_mov_b32_e32 v2, s13
	s_add_u32 s4, s18, s4
	v_mul_f32_e32 v3, s25, v2
	v_mov_b32_e32 v4, s12
	v_mul_f32_e32 v6, s24, v2
	s_addc_u32 s5, s19, s5
	v_fma_f32 v5, s24, v4, -v3
	v_fmac_f32_e32 v6, s25, v4
	v_mov_b32_e32 v2, s5
	v_add_co_u32_e32 v1, vcc, s4, v1
	v_mad_u64_u32 v[3:4], s[4:5], s2, v0, 0
	s_mul_i32 s6, s9, s7
	s_mul_hi_u32 s9, s8, s7
	v_mad_u64_u32 v[7:8], s[4:5], s3, v0, v[4:5]
	s_add_i32 s5, s9, s6
	s_mul_i32 s4, s8, s7
	s_lshl_b64 s[4:5], s[4:5], 3
	s_lshl_b64 s[0:1], s[0:1], 3
	s_add_u32 s0, s14, s0
	v_addc_co_u32_e32 v2, vcc, 0, v2, vcc
	v_mov_b32_e32 v4, v7
	s_addc_u32 s1, s15, s1
	v_add_co_u32_e32 v1, vcc, 4, v1
	v_lshlrev_b64 v[3:4], 3, v[3:4]
	s_add_u32 s0, s0, s4
	v_addc_co_u32_e32 v2, vcc, 0, v2, vcc
	s_addc_u32 s1, s1, s5
	v_mov_b32_e32 v7, s1
	v_add_co_u32_e32 v3, vcc, s0, v3
	v_addc_co_u32_e32 v4, vcc, v7, v4, vcc
	v_add_co_u32_e32 v3, vcc, 4, v3
	s_lshl_b64 s[0:1], s[2:3], 13
	v_addc_co_u32_e32 v4, vcc, 0, v4, vcc
	s_mov_b64 s[2:3], 0
	v_mov_b32_e32 v7, s1
.LBB18_3:                               ; =>This Inner Loop Header: Depth=1
	global_load_dwordx2 v[8:9], v[3:4], off offset:-4
	global_load_dwordx2 v[10:11], v[1:2], off offset:-4
	v_add_co_u32_e32 v3, vcc, s0, v3
	v_addc_co_u32_e32 v4, vcc, v4, v7, vcc
	v_add_u32_e32 v0, 0x400, v0
	v_cmp_le_i32_e32 vcc, s26, v0
	s_or_b64 s[2:3], vcc, s[2:3]
	s_waitcnt vmcnt(1)
	v_mul_f32_e32 v12, v6, v9
	v_mul_f32_e32 v9, v5, v9
	v_fma_f32 v12, v5, v8, -v12
	v_fmac_f32_e32 v9, v6, v8
	s_waitcnt vmcnt(0)
	v_add_f32_e32 v8, v10, v12
	v_add_f32_e32 v9, v9, v11
	global_store_dwordx2 v[1:2], v[8:9], off offset:-4
	v_add_co_u32_e32 v1, vcc, 0x2000, v1
	v_addc_co_u32_e32 v2, vcc, 0, v2, vcc
	s_andn2_b64 exec, exec, s[2:3]
	s_cbranch_execnz .LBB18_3
.LBB18_4:
	s_endpgm
	.section	.rodata,"a",@progbits
	.p2align	6, 0x0
	.amdhsa_kernel _ZL19rocblas_sger_kernelILi1024E19rocblas_complex_numIfES1_PKS1_PS1_EviiT1_lT2_lllS6_lllT3_lmli
		.amdhsa_group_segment_fixed_size 0
		.amdhsa_private_segment_fixed_size 0
		.amdhsa_kernarg_size 124
		.amdhsa_user_sgpr_count 6
		.amdhsa_user_sgpr_private_segment_buffer 1
		.amdhsa_user_sgpr_dispatch_ptr 0
		.amdhsa_user_sgpr_queue_ptr 0
		.amdhsa_user_sgpr_kernarg_segment_ptr 1
		.amdhsa_user_sgpr_dispatch_id 0
		.amdhsa_user_sgpr_flat_scratch_init 0
		.amdhsa_user_sgpr_private_segment_size 0
		.amdhsa_uses_dynamic_stack 0
		.amdhsa_system_sgpr_private_segment_wavefront_offset 0
		.amdhsa_system_sgpr_workgroup_id_x 1
		.amdhsa_system_sgpr_workgroup_id_y 0
		.amdhsa_system_sgpr_workgroup_id_z 1
		.amdhsa_system_sgpr_workgroup_info 0
		.amdhsa_system_vgpr_workitem_id 0
		.amdhsa_next_free_vgpr 13
		.amdhsa_next_free_sgpr 27
		.amdhsa_reserve_vcc 1
		.amdhsa_reserve_flat_scratch 0
		.amdhsa_float_round_mode_32 0
		.amdhsa_float_round_mode_16_64 0
		.amdhsa_float_denorm_mode_32 3
		.amdhsa_float_denorm_mode_16_64 3
		.amdhsa_dx10_clamp 1
		.amdhsa_ieee_mode 1
		.amdhsa_fp16_overflow 0
		.amdhsa_exception_fp_ieee_invalid_op 0
		.amdhsa_exception_fp_denorm_src 0
		.amdhsa_exception_fp_ieee_div_zero 0
		.amdhsa_exception_fp_ieee_overflow 0
		.amdhsa_exception_fp_ieee_underflow 0
		.amdhsa_exception_fp_ieee_inexact 0
		.amdhsa_exception_int_div_zero 0
	.end_amdhsa_kernel
	.section	.text._ZL19rocblas_sger_kernelILi1024E19rocblas_complex_numIfES1_PKS1_PS1_EviiT1_lT2_lllS6_lllT3_lmli,"axG",@progbits,_ZL19rocblas_sger_kernelILi1024E19rocblas_complex_numIfES1_PKS1_PS1_EviiT1_lT2_lllS6_lllT3_lmli,comdat
.Lfunc_end18:
	.size	_ZL19rocblas_sger_kernelILi1024E19rocblas_complex_numIfES1_PKS1_PS1_EviiT1_lT2_lllS6_lllT3_lmli, .Lfunc_end18-_ZL19rocblas_sger_kernelILi1024E19rocblas_complex_numIfES1_PKS1_PS1_EviiT1_lT2_lllS6_lllT3_lmli
                                        ; -- End function
	.set _ZL19rocblas_sger_kernelILi1024E19rocblas_complex_numIfES1_PKS1_PS1_EviiT1_lT2_lllS6_lllT3_lmli.num_vgpr, 13
	.set _ZL19rocblas_sger_kernelILi1024E19rocblas_complex_numIfES1_PKS1_PS1_EviiT1_lT2_lllS6_lllT3_lmli.num_agpr, 0
	.set _ZL19rocblas_sger_kernelILi1024E19rocblas_complex_numIfES1_PKS1_PS1_EviiT1_lT2_lllS6_lllT3_lmli.numbered_sgpr, 27
	.set _ZL19rocblas_sger_kernelILi1024E19rocblas_complex_numIfES1_PKS1_PS1_EviiT1_lT2_lllS6_lllT3_lmli.num_named_barrier, 0
	.set _ZL19rocblas_sger_kernelILi1024E19rocblas_complex_numIfES1_PKS1_PS1_EviiT1_lT2_lllS6_lllT3_lmli.private_seg_size, 0
	.set _ZL19rocblas_sger_kernelILi1024E19rocblas_complex_numIfES1_PKS1_PS1_EviiT1_lT2_lllS6_lllT3_lmli.uses_vcc, 1
	.set _ZL19rocblas_sger_kernelILi1024E19rocblas_complex_numIfES1_PKS1_PS1_EviiT1_lT2_lllS6_lllT3_lmli.uses_flat_scratch, 0
	.set _ZL19rocblas_sger_kernelILi1024E19rocblas_complex_numIfES1_PKS1_PS1_EviiT1_lT2_lllS6_lllT3_lmli.has_dyn_sized_stack, 0
	.set _ZL19rocblas_sger_kernelILi1024E19rocblas_complex_numIfES1_PKS1_PS1_EviiT1_lT2_lllS6_lllT3_lmli.has_recursion, 0
	.set _ZL19rocblas_sger_kernelILi1024E19rocblas_complex_numIfES1_PKS1_PS1_EviiT1_lT2_lllS6_lllT3_lmli.has_indirect_call, 0
	.section	.AMDGPU.csdata,"",@progbits
; Kernel info:
; codeLenInByte = 540
; TotalNumSgprs: 31
; NumVgprs: 13
; ScratchSize: 0
; MemoryBound: 0
; FloatMode: 240
; IeeeMode: 1
; LDSByteSize: 0 bytes/workgroup (compile time only)
; SGPRBlocks: 3
; VGPRBlocks: 3
; NumSGPRsForWavesPerEU: 31
; NumVGPRsForWavesPerEU: 13
; Occupancy: 10
; WaveLimiterHint : 0
; COMPUTE_PGM_RSRC2:SCRATCH_EN: 0
; COMPUTE_PGM_RSRC2:USER_SGPR: 6
; COMPUTE_PGM_RSRC2:TRAP_HANDLER: 0
; COMPUTE_PGM_RSRC2:TGID_X_EN: 1
; COMPUTE_PGM_RSRC2:TGID_Y_EN: 0
; COMPUTE_PGM_RSRC2:TGID_Z_EN: 1
; COMPUTE_PGM_RSRC2:TIDIG_COMP_CNT: 0
	.section	.text._ZL18rocblas_ger_kernelILi32ELi32ELi2ELb0E19rocblas_complex_numIfEPKS1_S3_PS1_EviiT4_lT5_lllS6_lllT6_lmli,"axG",@progbits,_ZL18rocblas_ger_kernelILi32ELi32ELi2ELb0E19rocblas_complex_numIfEPKS1_S3_PS1_EviiT4_lT5_lllS6_lllT6_lmli,comdat
	.globl	_ZL18rocblas_ger_kernelILi32ELi32ELi2ELb0E19rocblas_complex_numIfEPKS1_S3_PS1_EviiT4_lT5_lllS6_lllT6_lmli ; -- Begin function _ZL18rocblas_ger_kernelILi32ELi32ELi2ELb0E19rocblas_complex_numIfEPKS1_S3_PS1_EviiT4_lT5_lllS6_lllT6_lmli
	.p2align	8
	.type	_ZL18rocblas_ger_kernelILi32ELi32ELi2ELb0E19rocblas_complex_numIfEPKS1_S3_PS1_EviiT4_lT5_lllS6_lllT6_lmli,@function
_ZL18rocblas_ger_kernelILi32ELi32ELi2ELb0E19rocblas_complex_numIfEPKS1_S3_PS1_EviiT4_lT5_lllS6_lllT6_lmli: ; @_ZL18rocblas_ger_kernelILi32ELi32ELi2ELb0E19rocblas_complex_numIfEPKS1_S3_PS1_EviiT4_lT5_lllS6_lllT6_lmli
; %bb.0:
	s_load_dwordx2 s[8:9], s[4:5], 0x0
	s_load_dwordx4 s[12:15], s[4:5], 0x8
	s_waitcnt lgkmcnt(0)
	s_add_i32 s0, s8, -1
	s_ashr_i32 s1, s0, 31
	s_lshr_b32 s1, s1, 27
	s_add_i32 s0, s0, s1
	s_ashr_i32 s3, s0, 5
	s_add_i32 s2, s3, 1
	v_cvt_f32_u32_e32 v2, s2
	s_mul_i32 s0, s15, s7
	s_mul_hi_u32 s1, s14, s7
	s_add_i32 s1, s1, s0
	s_mul_i32 s0, s14, s7
	s_lshl_b64 s[0:1], s[0:1], 3
	v_rcp_iflag_f32_e32 v2, v2
	s_add_u32 s0, s12, s0
	s_addc_u32 s1, s13, s1
	s_load_dwordx2 s[10:11], s[0:1], 0x0
	v_mul_f32_e32 v2, 0x4f7ffffe, v2
	v_cvt_u32_f32_e32 v2, v2
	s_waitcnt lgkmcnt(0)
	s_or_b32 s0, s10, s11
	s_bitset0_b32 s0, 31
	s_cmp_eq_u32 s0, 0
	v_readfirstlane_b32 s14, v2
	s_cbranch_scc1 .LBB19_14
; %bb.1:
	s_not_b32 s3, s3
	s_mul_i32 s3, s3, s14
	s_mul_hi_u32 s3, s14, s3
	s_add_i32 s14, s14, s3
	s_mul_hi_u32 s3, s6, s14
	s_mul_i32 s14, s3, s2
	s_sub_i32 s14, s6, s14
	s_add_i32 s15, s3, 1
	s_sub_i32 s16, s14, s2
	s_cmp_ge_u32 s14, s2
	s_cselect_b32 s3, s15, s3
	s_cselect_b32 s14, s16, s14
	s_add_i32 s15, s3, 1
	s_load_dwordx2 s[12:13], s[4:5], 0x58
	s_load_dwordx2 s[0:1], s[4:5], 0x38
	s_cmp_ge_u32 s14, s2
	s_cselect_b32 s16, s15, s3
	s_mul_i32 s2, s16, s2
	s_sub_i32 s2, s6, s2
	v_lshl_add_u32 v2, s2, 5, v0
	v_cmp_eq_u32_e32 vcc, 0, v1
	s_and_saveexec_b64 s[2:3], vcc
	s_cbranch_execz .LBB19_5
; %bb.2:
	v_cmp_gt_i32_e32 vcc, s8, v2
	v_mov_b32_e32 v3, 0
	v_mov_b32_e32 v4, 0
	s_and_saveexec_b64 s[14:15], vcc
	s_cbranch_execz .LBB19_4
; %bb.3:
	s_load_dwordx2 s[18:19], s[4:5], 0x30
	s_load_dwordx2 s[24:25], s[4:5], 0x18
	s_load_dwordx4 s[20:23], s[4:5], 0x20
	v_ashrrev_i32_e32 v3, 31, v2
	s_waitcnt lgkmcnt(0)
	s_mul_i32 s6, s19, s7
	s_mul_hi_u32 s17, s18, s7
	s_mul_i32 s18, s18, s7
	s_add_i32 s19, s17, s6
	s_lshl_b64 s[18:19], s[18:19], 3
	s_add_u32 s6, s24, s18
	s_addc_u32 s17, s25, s19
	v_mul_lo_u32 v5, s23, v2
	v_mul_lo_u32 v6, s22, v3
	v_mad_u64_u32 v[3:4], s[18:19], s22, v2, 0
	s_lshl_b64 s[18:19], s[20:21], 3
	s_add_u32 s6, s6, s18
	v_add3_u32 v4, v4, v6, v5
	v_lshlrev_b64 v[3:4], 3, v[3:4]
	s_addc_u32 s17, s17, s19
	v_mov_b32_e32 v5, s17
	v_add_co_u32_e32 v3, vcc, s6, v3
	v_addc_co_u32_e32 v4, vcc, v5, v4, vcc
	global_load_dwordx2 v[3:4], v[3:4], off
.LBB19_4:
	s_or_b64 exec, exec, s[14:15]
	v_lshlrev_b32_e32 v5, 3, v0
	s_waitcnt vmcnt(0)
	ds_write_b64 v5, v[3:4] offset:512
.LBB19_5:
	s_or_b64 exec, exec, s[2:3]
	v_lshlrev_b32_e32 v5, 1, v1
	v_lshl_add_u32 v1, s16, 6, v5
	v_cmp_gt_u32_e32 vcc, 2, v0
	s_and_saveexec_b64 s[2:3], vcc
	s_cbranch_execz .LBB19_9
; %bb.6:
	v_or_b32_e32 v6, v1, v0
	v_cmp_gt_u32_e32 vcc, s9, v6
	v_mov_b32_e32 v3, 0
	v_mov_b32_e32 v4, 0
	s_and_saveexec_b64 s[14:15], vcc
	s_cbranch_execz .LBB19_8
; %bb.7:
	s_load_dwordx2 s[20:21], s[4:5], 0x50
	s_load_dwordx4 s[16:19], s[4:5], 0x40
	s_waitcnt lgkmcnt(0)
	s_mul_i32 s6, s21, s7
	s_mul_hi_u32 s21, s20, s7
	v_mad_u64_u32 v[3:4], s[22:23], s18, v6, 0
	s_mul_i32 s20, s20, s7
	s_add_i32 s21, s21, s6
	s_lshl_b64 s[20:21], s[20:21], 3
	s_add_u32 s6, s0, s20
	s_addc_u32 s18, s1, s21
	v_mad_u64_u32 v[6:7], s[0:1], s19, v6, v[4:5]
	s_lshl_b64 s[0:1], s[16:17], 3
	s_add_u32 s0, s6, s0
	v_mov_b32_e32 v4, v6
	v_lshlrev_b64 v[3:4], 3, v[3:4]
	s_addc_u32 s1, s18, s1
	v_mov_b32_e32 v6, s1
	v_add_co_u32_e32 v3, vcc, s0, v3
	v_addc_co_u32_e32 v4, vcc, v6, v4, vcc
	global_load_dwordx2 v[3:4], v[3:4], off
.LBB19_8:
	s_or_b64 exec, exec, s[14:15]
	v_lshlrev_b32_e32 v6, 3, v0
	v_lshl_add_u32 v6, v5, 3, v6
	s_waitcnt vmcnt(0)
	ds_write_b64 v6, v[3:4]
.LBB19_9:
	s_or_b64 exec, exec, s[2:3]
	v_cmp_gt_i32_e32 vcc, s8, v2
	s_waitcnt lgkmcnt(0)
	s_barrier
	s_and_saveexec_b64 s[0:1], vcc
	s_cbranch_execz .LBB19_14
; %bb.10:
	s_load_dwordx2 s[14:15], s[4:5], 0x70
	s_load_dwordx4 s[0:3], s[4:5], 0x60
	v_lshlrev_b32_e32 v0, 3, v0
	ds_read_b64 v[3:4], v0 offset:512
	v_lshlrev_b32_e32 v5, 3, v5
	s_waitcnt lgkmcnt(0)
	s_mul_i32 s5, s15, s7
	s_mul_hi_u32 s6, s14, s7
	s_mul_i32 s4, s14, s7
	s_add_i32 s5, s6, s5
	s_lshl_b64 s[4:5], s[4:5], 3
	s_add_u32 s4, s12, s4
	v_mul_f32_e32 v0, s11, v4
	v_mul_f32_e32 v4, s10, v4
	s_addc_u32 s5, s13, s5
	s_lshl_b64 s[0:1], s[0:1], 3
	v_fma_f32 v0, v3, s10, -v0
	v_fmac_f32_e32 v4, s11, v3
	v_ashrrev_i32_e32 v3, 31, v2
	s_add_u32 s0, s4, s0
	v_lshlrev_b64 v[2:3], 3, v[2:3]
	s_addc_u32 s1, s5, s1
	v_mov_b32_e32 v6, s1
	v_add_co_u32_e32 v2, vcc, s0, v2
	v_addc_co_u32_e32 v3, vcc, v6, v3, vcc
	v_cmp_gt_i32_e32 vcc, s9, v1
	s_and_saveexec_b64 s[0:1], vcc
	s_cbranch_execz .LBB19_12
; %bb.11:
	v_ashrrev_i32_e32 v8, 31, v1
	v_mul_lo_u32 v9, s3, v1
	v_mad_u64_u32 v[6:7], s[4:5], s2, v1, 0
	v_mul_lo_u32 v8, s2, v8
	ds_read_b64 v[10:11], v5
	v_add3_u32 v7, v7, v8, v9
	v_lshlrev_b64 v[6:7], 3, v[6:7]
	s_waitcnt lgkmcnt(0)
	v_mul_f32_e32 v12, v4, v11
	v_add_co_u32_e32 v6, vcc, v2, v6
	v_addc_co_u32_e32 v7, vcc, v3, v7, vcc
	global_load_dwordx2 v[8:9], v[6:7], off
	v_mul_f32_e32 v11, v0, v11
	v_fma_f32 v12, v0, v10, -v12
	v_fmac_f32_e32 v11, v4, v10
	s_waitcnt vmcnt(0)
	v_add_f32_e32 v8, v8, v12
	v_add_f32_e32 v9, v11, v9
	global_store_dwordx2 v[6:7], v[8:9], off
.LBB19_12:
	s_or_b64 exec, exec, s[0:1]
	v_or_b32_e32 v1, 1, v1
	v_cmp_gt_i32_e32 vcc, s9, v1
	s_and_b64 exec, exec, vcc
	s_cbranch_execz .LBB19_14
; %bb.13:
	v_ashrrev_i32_e32 v8, 31, v1
	v_mul_lo_u32 v9, s3, v1
	v_mad_u64_u32 v[6:7], s[0:1], s2, v1, 0
	v_mul_lo_u32 v1, s2, v8
	v_add3_u32 v7, v7, v1, v9
	v_lshlrev_b64 v[6:7], 3, v[6:7]
	ds_read_b64 v[8:9], v5 offset:8
	v_add_co_u32_e32 v1, vcc, v2, v6
	v_addc_co_u32_e32 v2, vcc, v3, v7, vcc
	global_load_dwordx2 v[6:7], v[1:2], off
	s_waitcnt lgkmcnt(0)
	v_mul_f32_e32 v3, v4, v9
	v_mul_f32_e32 v5, v0, v9
	v_fma_f32 v0, v0, v8, -v3
	v_fmac_f32_e32 v5, v4, v8
	s_waitcnt vmcnt(0)
	v_add_f32_e32 v3, v6, v0
	v_add_f32_e32 v4, v5, v7
	global_store_dwordx2 v[1:2], v[3:4], off
.LBB19_14:
	s_endpgm
	.section	.rodata,"a",@progbits
	.p2align	6, 0x0
	.amdhsa_kernel _ZL18rocblas_ger_kernelILi32ELi32ELi2ELb0E19rocblas_complex_numIfEPKS1_S3_PS1_EviiT4_lT5_lllS6_lllT6_lmli
		.amdhsa_group_segment_fixed_size 768
		.amdhsa_private_segment_fixed_size 0
		.amdhsa_kernarg_size 124
		.amdhsa_user_sgpr_count 6
		.amdhsa_user_sgpr_private_segment_buffer 1
		.amdhsa_user_sgpr_dispatch_ptr 0
		.amdhsa_user_sgpr_queue_ptr 0
		.amdhsa_user_sgpr_kernarg_segment_ptr 1
		.amdhsa_user_sgpr_dispatch_id 0
		.amdhsa_user_sgpr_flat_scratch_init 0
		.amdhsa_user_sgpr_private_segment_size 0
		.amdhsa_uses_dynamic_stack 0
		.amdhsa_system_sgpr_private_segment_wavefront_offset 0
		.amdhsa_system_sgpr_workgroup_id_x 1
		.amdhsa_system_sgpr_workgroup_id_y 0
		.amdhsa_system_sgpr_workgroup_id_z 1
		.amdhsa_system_sgpr_workgroup_info 0
		.amdhsa_system_vgpr_workitem_id 1
		.amdhsa_next_free_vgpr 13
		.amdhsa_next_free_sgpr 26
		.amdhsa_reserve_vcc 1
		.amdhsa_reserve_flat_scratch 0
		.amdhsa_float_round_mode_32 0
		.amdhsa_float_round_mode_16_64 0
		.amdhsa_float_denorm_mode_32 3
		.amdhsa_float_denorm_mode_16_64 3
		.amdhsa_dx10_clamp 1
		.amdhsa_ieee_mode 1
		.amdhsa_fp16_overflow 0
		.amdhsa_exception_fp_ieee_invalid_op 0
		.amdhsa_exception_fp_denorm_src 0
		.amdhsa_exception_fp_ieee_div_zero 0
		.amdhsa_exception_fp_ieee_overflow 0
		.amdhsa_exception_fp_ieee_underflow 0
		.amdhsa_exception_fp_ieee_inexact 0
		.amdhsa_exception_int_div_zero 0
	.end_amdhsa_kernel
	.section	.text._ZL18rocblas_ger_kernelILi32ELi32ELi2ELb0E19rocblas_complex_numIfEPKS1_S3_PS1_EviiT4_lT5_lllS6_lllT6_lmli,"axG",@progbits,_ZL18rocblas_ger_kernelILi32ELi32ELi2ELb0E19rocblas_complex_numIfEPKS1_S3_PS1_EviiT4_lT5_lllS6_lllT6_lmli,comdat
.Lfunc_end19:
	.size	_ZL18rocblas_ger_kernelILi32ELi32ELi2ELb0E19rocblas_complex_numIfEPKS1_S3_PS1_EviiT4_lT5_lllS6_lllT6_lmli, .Lfunc_end19-_ZL18rocblas_ger_kernelILi32ELi32ELi2ELb0E19rocblas_complex_numIfEPKS1_S3_PS1_EviiT4_lT5_lllS6_lllT6_lmli
                                        ; -- End function
	.set _ZL18rocblas_ger_kernelILi32ELi32ELi2ELb0E19rocblas_complex_numIfEPKS1_S3_PS1_EviiT4_lT5_lllS6_lllT6_lmli.num_vgpr, 13
	.set _ZL18rocblas_ger_kernelILi32ELi32ELi2ELb0E19rocblas_complex_numIfEPKS1_S3_PS1_EviiT4_lT5_lllS6_lllT6_lmli.num_agpr, 0
	.set _ZL18rocblas_ger_kernelILi32ELi32ELi2ELb0E19rocblas_complex_numIfEPKS1_S3_PS1_EviiT4_lT5_lllS6_lllT6_lmli.numbered_sgpr, 26
	.set _ZL18rocblas_ger_kernelILi32ELi32ELi2ELb0E19rocblas_complex_numIfEPKS1_S3_PS1_EviiT4_lT5_lllS6_lllT6_lmli.num_named_barrier, 0
	.set _ZL18rocblas_ger_kernelILi32ELi32ELi2ELb0E19rocblas_complex_numIfEPKS1_S3_PS1_EviiT4_lT5_lllS6_lllT6_lmli.private_seg_size, 0
	.set _ZL18rocblas_ger_kernelILi32ELi32ELi2ELb0E19rocblas_complex_numIfEPKS1_S3_PS1_EviiT4_lT5_lllS6_lllT6_lmli.uses_vcc, 1
	.set _ZL18rocblas_ger_kernelILi32ELi32ELi2ELb0E19rocblas_complex_numIfEPKS1_S3_PS1_EviiT4_lT5_lllS6_lllT6_lmli.uses_flat_scratch, 0
	.set _ZL18rocblas_ger_kernelILi32ELi32ELi2ELb0E19rocblas_complex_numIfEPKS1_S3_PS1_EviiT4_lT5_lllS6_lllT6_lmli.has_dyn_sized_stack, 0
	.set _ZL18rocblas_ger_kernelILi32ELi32ELi2ELb0E19rocblas_complex_numIfEPKS1_S3_PS1_EviiT4_lT5_lllS6_lllT6_lmli.has_recursion, 0
	.set _ZL18rocblas_ger_kernelILi32ELi32ELi2ELb0E19rocblas_complex_numIfEPKS1_S3_PS1_EviiT4_lT5_lllS6_lllT6_lmli.has_indirect_call, 0
	.section	.AMDGPU.csdata,"",@progbits
; Kernel info:
; codeLenInByte = 992
; TotalNumSgprs: 30
; NumVgprs: 13
; ScratchSize: 0
; MemoryBound: 0
; FloatMode: 240
; IeeeMode: 1
; LDSByteSize: 768 bytes/workgroup (compile time only)
; SGPRBlocks: 3
; VGPRBlocks: 3
; NumSGPRsForWavesPerEU: 30
; NumVGPRsForWavesPerEU: 13
; Occupancy: 10
; WaveLimiterHint : 0
; COMPUTE_PGM_RSRC2:SCRATCH_EN: 0
; COMPUTE_PGM_RSRC2:USER_SGPR: 6
; COMPUTE_PGM_RSRC2:TRAP_HANDLER: 0
; COMPUTE_PGM_RSRC2:TGID_X_EN: 1
; COMPUTE_PGM_RSRC2:TGID_Y_EN: 0
; COMPUTE_PGM_RSRC2:TGID_Z_EN: 1
; COMPUTE_PGM_RSRC2:TIDIG_COMP_CNT: 1
	.section	.text._ZL18rocblas_ger_kernelILi32ELi32ELi2ELb0E19rocblas_complex_numIfES1_PKS1_PS1_EviiT4_lT5_lllS6_lllT6_lmli,"axG",@progbits,_ZL18rocblas_ger_kernelILi32ELi32ELi2ELb0E19rocblas_complex_numIfES1_PKS1_PS1_EviiT4_lT5_lllS6_lllT6_lmli,comdat
	.globl	_ZL18rocblas_ger_kernelILi32ELi32ELi2ELb0E19rocblas_complex_numIfES1_PKS1_PS1_EviiT4_lT5_lllS6_lllT6_lmli ; -- Begin function _ZL18rocblas_ger_kernelILi32ELi32ELi2ELb0E19rocblas_complex_numIfES1_PKS1_PS1_EviiT4_lT5_lllS6_lllT6_lmli
	.p2align	8
	.type	_ZL18rocblas_ger_kernelILi32ELi32ELi2ELb0E19rocblas_complex_numIfES1_PKS1_PS1_EviiT4_lT5_lllS6_lllT6_lmli,@function
_ZL18rocblas_ger_kernelILi32ELi32ELi2ELb0E19rocblas_complex_numIfES1_PKS1_PS1_EviiT4_lT5_lllS6_lllT6_lmli: ; @_ZL18rocblas_ger_kernelILi32ELi32ELi2ELb0E19rocblas_complex_numIfES1_PKS1_PS1_EviiT4_lT5_lllS6_lllT6_lmli
; %bb.0:
	s_load_dwordx4 s[0:3], s[4:5], 0x0
	s_waitcnt lgkmcnt(0)
	s_add_i32 s8, s0, -1
	s_ashr_i32 s9, s8, 31
	s_lshr_b32 s9, s9, 27
	s_add_i32 s8, s8, s9
	s_ashr_i32 s11, s8, 5
	s_add_i32 s10, s11, 1
	v_cvt_f32_u32_e32 v2, s10
	s_or_b32 s8, s2, s3
	s_bitset0_b32 s8, 31
	s_cmp_eq_u32 s8, 0
	v_rcp_iflag_f32_e32 v2, v2
	v_mul_f32_e32 v2, 0x4f7ffffe, v2
	v_cvt_u32_f32_e32 v2, v2
	v_readfirstlane_b32 s14, v2
	s_cbranch_scc1 .LBB20_14
; %bb.1:
	s_not_b32 s11, s11
	s_mul_i32 s11, s11, s14
	s_mul_hi_u32 s11, s14, s11
	s_add_i32 s14, s14, s11
	s_mul_hi_u32 s11, s6, s14
	s_mul_i32 s14, s11, s10
	s_sub_i32 s14, s6, s14
	s_add_i32 s15, s11, 1
	s_sub_i32 s16, s14, s10
	s_cmp_ge_u32 s14, s10
	s_cselect_b32 s11, s15, s11
	s_cselect_b32 s14, s16, s14
	s_add_i32 s15, s11, 1
	s_load_dwordx2 s[12:13], s[4:5], 0x58
	s_load_dwordx2 s[8:9], s[4:5], 0x38
	s_cmp_ge_u32 s14, s10
	s_cselect_b32 s16, s15, s11
	s_mul_i32 s10, s16, s10
	s_sub_i32 s6, s6, s10
	v_lshl_add_u32 v2, s6, 5, v0
	v_cmp_eq_u32_e32 vcc, 0, v1
	s_and_saveexec_b64 s[10:11], vcc
	s_cbranch_execz .LBB20_5
; %bb.2:
	v_cmp_gt_i32_e32 vcc, s0, v2
	v_mov_b32_e32 v3, 0
	v_mov_b32_e32 v4, 0
	s_and_saveexec_b64 s[14:15], vcc
	s_cbranch_execz .LBB20_4
; %bb.3:
	s_load_dwordx2 s[18:19], s[4:5], 0x30
	s_load_dwordx2 s[24:25], s[4:5], 0x18
	s_load_dwordx4 s[20:23], s[4:5], 0x20
	v_ashrrev_i32_e32 v3, 31, v2
	s_waitcnt lgkmcnt(0)
	s_mul_i32 s6, s19, s7
	s_mul_hi_u32 s17, s18, s7
	s_mul_i32 s18, s18, s7
	s_add_i32 s19, s17, s6
	s_lshl_b64 s[18:19], s[18:19], 3
	s_add_u32 s6, s24, s18
	s_addc_u32 s17, s25, s19
	v_mul_lo_u32 v5, s23, v2
	v_mul_lo_u32 v6, s22, v3
	v_mad_u64_u32 v[3:4], s[18:19], s22, v2, 0
	s_lshl_b64 s[18:19], s[20:21], 3
	s_add_u32 s6, s6, s18
	v_add3_u32 v4, v4, v6, v5
	v_lshlrev_b64 v[3:4], 3, v[3:4]
	s_addc_u32 s17, s17, s19
	v_mov_b32_e32 v5, s17
	v_add_co_u32_e32 v3, vcc, s6, v3
	v_addc_co_u32_e32 v4, vcc, v5, v4, vcc
	global_load_dwordx2 v[3:4], v[3:4], off
.LBB20_4:
	s_or_b64 exec, exec, s[14:15]
	v_lshlrev_b32_e32 v5, 3, v0
	s_waitcnt vmcnt(0)
	ds_write_b64 v5, v[3:4] offset:512
.LBB20_5:
	s_or_b64 exec, exec, s[10:11]
	v_lshlrev_b32_e32 v5, 1, v1
	v_lshl_add_u32 v1, s16, 6, v5
	v_cmp_gt_u32_e32 vcc, 2, v0
	s_and_saveexec_b64 s[10:11], vcc
	s_cbranch_execz .LBB20_9
; %bb.6:
	v_or_b32_e32 v6, v1, v0
	v_cmp_gt_u32_e32 vcc, s1, v6
	v_mov_b32_e32 v3, 0
	v_mov_b32_e32 v4, 0
	s_and_saveexec_b64 s[14:15], vcc
	s_cbranch_execz .LBB20_8
; %bb.7:
	s_load_dwordx2 s[20:21], s[4:5], 0x50
	s_load_dwordx4 s[16:19], s[4:5], 0x40
	s_waitcnt lgkmcnt(0)
	s_mul_i32 s6, s21, s7
	s_mul_hi_u32 s21, s20, s7
	v_mad_u64_u32 v[3:4], s[22:23], s18, v6, 0
	s_mul_i32 s20, s20, s7
	s_add_i32 s21, s21, s6
	s_lshl_b64 s[20:21], s[20:21], 3
	s_add_u32 s6, s8, s20
	s_addc_u32 s18, s9, s21
	v_mad_u64_u32 v[6:7], s[8:9], s19, v6, v[4:5]
	s_lshl_b64 s[8:9], s[16:17], 3
	s_add_u32 s6, s6, s8
	v_mov_b32_e32 v4, v6
	v_lshlrev_b64 v[3:4], 3, v[3:4]
	s_addc_u32 s8, s18, s9
	v_mov_b32_e32 v6, s8
	v_add_co_u32_e32 v3, vcc, s6, v3
	v_addc_co_u32_e32 v4, vcc, v6, v4, vcc
	global_load_dwordx2 v[3:4], v[3:4], off
.LBB20_8:
	s_or_b64 exec, exec, s[14:15]
	v_lshlrev_b32_e32 v6, 3, v0
	v_lshl_add_u32 v6, v5, 3, v6
	s_waitcnt vmcnt(0)
	ds_write_b64 v6, v[3:4]
.LBB20_9:
	s_or_b64 exec, exec, s[10:11]
	v_cmp_gt_i32_e32 vcc, s0, v2
	s_waitcnt lgkmcnt(0)
	s_barrier
	s_and_saveexec_b64 s[8:9], vcc
	s_cbranch_execz .LBB20_14
; %bb.10:
	s_load_dwordx2 s[14:15], s[4:5], 0x70
	s_load_dwordx4 s[8:11], s[4:5], 0x60
	v_lshlrev_b32_e32 v0, 3, v0
	ds_read_b64 v[3:4], v0 offset:512
	v_lshlrev_b32_e32 v5, 3, v5
	s_waitcnt lgkmcnt(0)
	s_mul_i32 s0, s15, s7
	s_mul_hi_u32 s5, s14, s7
	s_mul_i32 s4, s14, s7
	s_add_i32 s5, s5, s0
	s_lshl_b64 s[4:5], s[4:5], 3
	s_add_u32 s0, s12, s4
	v_mul_f32_e32 v0, s3, v4
	v_mul_f32_e32 v4, s2, v4
	s_addc_u32 s6, s13, s5
	s_lshl_b64 s[4:5], s[8:9], 3
	v_fma_f32 v0, v3, s2, -v0
	v_fmac_f32_e32 v4, s3, v3
	v_ashrrev_i32_e32 v3, 31, v2
	s_add_u32 s0, s0, s4
	v_lshlrev_b64 v[2:3], 3, v[2:3]
	s_addc_u32 s4, s6, s5
	v_mov_b32_e32 v6, s4
	v_add_co_u32_e32 v2, vcc, s0, v2
	v_addc_co_u32_e32 v3, vcc, v6, v3, vcc
	v_cmp_gt_i32_e32 vcc, s1, v1
	s_and_saveexec_b64 s[2:3], vcc
	s_cbranch_execz .LBB20_12
; %bb.11:
	v_ashrrev_i32_e32 v8, 31, v1
	v_mul_lo_u32 v9, s11, v1
	v_mad_u64_u32 v[6:7], s[4:5], s10, v1, 0
	v_mul_lo_u32 v8, s10, v8
	ds_read_b64 v[10:11], v5
	v_add3_u32 v7, v7, v8, v9
	v_lshlrev_b64 v[6:7], 3, v[6:7]
	s_waitcnt lgkmcnt(0)
	v_mul_f32_e32 v12, v4, v11
	v_add_co_u32_e32 v6, vcc, v2, v6
	v_addc_co_u32_e32 v7, vcc, v3, v7, vcc
	global_load_dwordx2 v[8:9], v[6:7], off
	v_mul_f32_e32 v11, v0, v11
	v_fma_f32 v12, v0, v10, -v12
	v_fmac_f32_e32 v11, v4, v10
	s_waitcnt vmcnt(0)
	v_add_f32_e32 v8, v8, v12
	v_add_f32_e32 v9, v11, v9
	global_store_dwordx2 v[6:7], v[8:9], off
.LBB20_12:
	s_or_b64 exec, exec, s[2:3]
	v_or_b32_e32 v1, 1, v1
	v_cmp_gt_i32_e32 vcc, s1, v1
	s_and_b64 exec, exec, vcc
	s_cbranch_execz .LBB20_14
; %bb.13:
	v_ashrrev_i32_e32 v8, 31, v1
	v_mul_lo_u32 v9, s11, v1
	v_mad_u64_u32 v[6:7], s[0:1], s10, v1, 0
	v_mul_lo_u32 v1, s10, v8
	v_add3_u32 v7, v7, v1, v9
	v_lshlrev_b64 v[6:7], 3, v[6:7]
	ds_read_b64 v[8:9], v5 offset:8
	v_add_co_u32_e32 v1, vcc, v2, v6
	v_addc_co_u32_e32 v2, vcc, v3, v7, vcc
	global_load_dwordx2 v[6:7], v[1:2], off
	s_waitcnt lgkmcnt(0)
	v_mul_f32_e32 v3, v4, v9
	v_mul_f32_e32 v5, v0, v9
	v_fma_f32 v0, v0, v8, -v3
	v_fmac_f32_e32 v5, v4, v8
	s_waitcnt vmcnt(0)
	v_add_f32_e32 v3, v6, v0
	v_add_f32_e32 v4, v5, v7
	global_store_dwordx2 v[1:2], v[3:4], off
.LBB20_14:
	s_endpgm
	.section	.rodata,"a",@progbits
	.p2align	6, 0x0
	.amdhsa_kernel _ZL18rocblas_ger_kernelILi32ELi32ELi2ELb0E19rocblas_complex_numIfES1_PKS1_PS1_EviiT4_lT5_lllS6_lllT6_lmli
		.amdhsa_group_segment_fixed_size 768
		.amdhsa_private_segment_fixed_size 0
		.amdhsa_kernarg_size 124
		.amdhsa_user_sgpr_count 6
		.amdhsa_user_sgpr_private_segment_buffer 1
		.amdhsa_user_sgpr_dispatch_ptr 0
		.amdhsa_user_sgpr_queue_ptr 0
		.amdhsa_user_sgpr_kernarg_segment_ptr 1
		.amdhsa_user_sgpr_dispatch_id 0
		.amdhsa_user_sgpr_flat_scratch_init 0
		.amdhsa_user_sgpr_private_segment_size 0
		.amdhsa_uses_dynamic_stack 0
		.amdhsa_system_sgpr_private_segment_wavefront_offset 0
		.amdhsa_system_sgpr_workgroup_id_x 1
		.amdhsa_system_sgpr_workgroup_id_y 0
		.amdhsa_system_sgpr_workgroup_id_z 1
		.amdhsa_system_sgpr_workgroup_info 0
		.amdhsa_system_vgpr_workitem_id 1
		.amdhsa_next_free_vgpr 13
		.amdhsa_next_free_sgpr 26
		.amdhsa_reserve_vcc 1
		.amdhsa_reserve_flat_scratch 0
		.amdhsa_float_round_mode_32 0
		.amdhsa_float_round_mode_16_64 0
		.amdhsa_float_denorm_mode_32 3
		.amdhsa_float_denorm_mode_16_64 3
		.amdhsa_dx10_clamp 1
		.amdhsa_ieee_mode 1
		.amdhsa_fp16_overflow 0
		.amdhsa_exception_fp_ieee_invalid_op 0
		.amdhsa_exception_fp_denorm_src 0
		.amdhsa_exception_fp_ieee_div_zero 0
		.amdhsa_exception_fp_ieee_overflow 0
		.amdhsa_exception_fp_ieee_underflow 0
		.amdhsa_exception_fp_ieee_inexact 0
		.amdhsa_exception_int_div_zero 0
	.end_amdhsa_kernel
	.section	.text._ZL18rocblas_ger_kernelILi32ELi32ELi2ELb0E19rocblas_complex_numIfES1_PKS1_PS1_EviiT4_lT5_lllS6_lllT6_lmli,"axG",@progbits,_ZL18rocblas_ger_kernelILi32ELi32ELi2ELb0E19rocblas_complex_numIfES1_PKS1_PS1_EviiT4_lT5_lllS6_lllT6_lmli,comdat
.Lfunc_end20:
	.size	_ZL18rocblas_ger_kernelILi32ELi32ELi2ELb0E19rocblas_complex_numIfES1_PKS1_PS1_EviiT4_lT5_lllS6_lllT6_lmli, .Lfunc_end20-_ZL18rocblas_ger_kernelILi32ELi32ELi2ELb0E19rocblas_complex_numIfES1_PKS1_PS1_EviiT4_lT5_lllS6_lllT6_lmli
                                        ; -- End function
	.set _ZL18rocblas_ger_kernelILi32ELi32ELi2ELb0E19rocblas_complex_numIfES1_PKS1_PS1_EviiT4_lT5_lllS6_lllT6_lmli.num_vgpr, 13
	.set _ZL18rocblas_ger_kernelILi32ELi32ELi2ELb0E19rocblas_complex_numIfES1_PKS1_PS1_EviiT4_lT5_lllS6_lllT6_lmli.num_agpr, 0
	.set _ZL18rocblas_ger_kernelILi32ELi32ELi2ELb0E19rocblas_complex_numIfES1_PKS1_PS1_EviiT4_lT5_lllS6_lllT6_lmli.numbered_sgpr, 26
	.set _ZL18rocblas_ger_kernelILi32ELi32ELi2ELb0E19rocblas_complex_numIfES1_PKS1_PS1_EviiT4_lT5_lllS6_lllT6_lmli.num_named_barrier, 0
	.set _ZL18rocblas_ger_kernelILi32ELi32ELi2ELb0E19rocblas_complex_numIfES1_PKS1_PS1_EviiT4_lT5_lllS6_lllT6_lmli.private_seg_size, 0
	.set _ZL18rocblas_ger_kernelILi32ELi32ELi2ELb0E19rocblas_complex_numIfES1_PKS1_PS1_EviiT4_lT5_lllS6_lllT6_lmli.uses_vcc, 1
	.set _ZL18rocblas_ger_kernelILi32ELi32ELi2ELb0E19rocblas_complex_numIfES1_PKS1_PS1_EviiT4_lT5_lllS6_lllT6_lmli.uses_flat_scratch, 0
	.set _ZL18rocblas_ger_kernelILi32ELi32ELi2ELb0E19rocblas_complex_numIfES1_PKS1_PS1_EviiT4_lT5_lllS6_lllT6_lmli.has_dyn_sized_stack, 0
	.set _ZL18rocblas_ger_kernelILi32ELi32ELi2ELb0E19rocblas_complex_numIfES1_PKS1_PS1_EviiT4_lT5_lllS6_lllT6_lmli.has_recursion, 0
	.set _ZL18rocblas_ger_kernelILi32ELi32ELi2ELb0E19rocblas_complex_numIfES1_PKS1_PS1_EviiT4_lT5_lllS6_lllT6_lmli.has_indirect_call, 0
	.section	.AMDGPU.csdata,"",@progbits
; Kernel info:
; codeLenInByte = 944
; TotalNumSgprs: 30
; NumVgprs: 13
; ScratchSize: 0
; MemoryBound: 0
; FloatMode: 240
; IeeeMode: 1
; LDSByteSize: 768 bytes/workgroup (compile time only)
; SGPRBlocks: 3
; VGPRBlocks: 3
; NumSGPRsForWavesPerEU: 30
; NumVGPRsForWavesPerEU: 13
; Occupancy: 10
; WaveLimiterHint : 0
; COMPUTE_PGM_RSRC2:SCRATCH_EN: 0
; COMPUTE_PGM_RSRC2:USER_SGPR: 6
; COMPUTE_PGM_RSRC2:TRAP_HANDLER: 0
; COMPUTE_PGM_RSRC2:TGID_X_EN: 1
; COMPUTE_PGM_RSRC2:TGID_Y_EN: 0
; COMPUTE_PGM_RSRC2:TGID_Z_EN: 1
; COMPUTE_PGM_RSRC2:TIDIG_COMP_CNT: 1
	.section	.text._ZL34rocblas_ger_double_buffered_kernelILb0ELi64ELi16ELi2E19rocblas_complex_numIdE24rocblas_internal_val_ptrIS1_EPKS1_PS1_EvbiiT4_lT5_lllS8_lllT6_lmli,"axG",@progbits,_ZL34rocblas_ger_double_buffered_kernelILb0ELi64ELi16ELi2E19rocblas_complex_numIdE24rocblas_internal_val_ptrIS1_EPKS1_PS1_EvbiiT4_lT5_lllS8_lllT6_lmli,comdat
	.globl	_ZL34rocblas_ger_double_buffered_kernelILb0ELi64ELi16ELi2E19rocblas_complex_numIdE24rocblas_internal_val_ptrIS1_EPKS1_PS1_EvbiiT4_lT5_lllS8_lllT6_lmli ; -- Begin function _ZL34rocblas_ger_double_buffered_kernelILb0ELi64ELi16ELi2E19rocblas_complex_numIdE24rocblas_internal_val_ptrIS1_EPKS1_PS1_EvbiiT4_lT5_lllS8_lllT6_lmli
	.p2align	8
	.type	_ZL34rocblas_ger_double_buffered_kernelILb0ELi64ELi16ELi2E19rocblas_complex_numIdE24rocblas_internal_val_ptrIS1_EPKS1_PS1_EvbiiT4_lT5_lllS8_lllT6_lmli,@function
_ZL34rocblas_ger_double_buffered_kernelILb0ELi64ELi16ELi2E19rocblas_complex_numIdE24rocblas_internal_val_ptrIS1_EPKS1_PS1_EvbiiT4_lT5_lllS8_lllT6_lmli: ; @_ZL34rocblas_ger_double_buffered_kernelILb0ELi64ELi16ELi2E19rocblas_complex_numIdE24rocblas_internal_val_ptrIS1_EPKS1_PS1_EvbiiT4_lT5_lllS8_lllT6_lmli
; %bb.0:
	s_load_dword s0, s[4:5], 0x0
	s_load_dwordx2 s[10:11], s[4:5], 0x10
	s_waitcnt lgkmcnt(0)
	s_bitcmp0_b32 s0, 0
	s_cbranch_scc0 .LBB21_2
; %bb.1:
	s_load_dwordx2 s[0:1], s[4:5], 0x20
	s_waitcnt lgkmcnt(0)
	s_mul_i32 s1, s1, s8
	s_mul_hi_u32 s2, s0, s8
	s_add_i32 s1, s2, s1
	s_mul_i32 s0, s0, s8
	s_lshl_b64 s[0:1], s[0:1], 4
	s_add_u32 s12, s10, s0
	s_addc_u32 s13, s11, s1
	s_load_dwordx4 s[0:3], s[12:13], 0x0
	s_cbranch_execz .LBB21_3
	s_branch .LBB21_4
.LBB21_2:
                                        ; implicit-def: $sgpr2_sgpr3
.LBB21_3:
	s_waitcnt lgkmcnt(0)
	s_load_dwordx2 s[2:3], s[4:5], 0x18
	s_mov_b64 s[0:1], s[10:11]
.LBB21_4:
	s_waitcnt lgkmcnt(0)
	v_cmp_neq_f64_e64 s[10:11], s[0:1], 0
	v_cmp_neq_f64_e64 s[12:13], s[2:3], 0
	s_or_b64 s[10:11], s[10:11], s[12:13]
	s_andn2_b64 vcc, exec, s[10:11]
	s_cbranch_vccnz .LBB21_6
; %bb.5:
	s_load_dwordx8 s[20:27], s[4:5], 0x60
	s_load_dwordx8 s[12:19], s[4:5], 0x40
	s_load_dwordx2 s[10:11], s[4:5], 0x80
	s_load_dwordx2 s[34:35], s[4:5], 0x28
	s_load_dwordx4 s[28:31], s[4:5], 0x30
	v_and_b32_e32 v8, 31, v0
	v_lshl_add_u32 v3, v1, 6, v0
	s_waitcnt lgkmcnt(0)
	s_mul_i32 s4, s11, s8
	s_mul_hi_u32 s5, s10, s8
	s_add_i32 s5, s5, s4
	s_mul_i32 s4, s10, s8
	s_lshl_b64 s[4:5], s[4:5], 4
	s_add_u32 s9, s22, s4
	s_addc_u32 s10, s23, s5
	s_lshl_b64 s[4:5], s[24:25], 4
	s_add_u32 s11, s9, s4
	s_addc_u32 s10, s10, s5
	s_mul_i32 s4, s21, s8
	s_mul_hi_u32 s5, s20, s8
	s_add_i32 s5, s5, s4
	s_mul_i32 s4, s20, s8
	s_lshl_b64 s[4:5], s[4:5], 4
	s_add_u32 s9, s14, s4
	s_addc_u32 s14, s15, s5
	s_lshl_b64 s[4:5], s[16:17], 4
	s_add_u32 s15, s9, s4
	s_addc_u32 s14, s14, s5
	;; [unrolled: 10-line block ×3, first 2 shown]
	s_lshl_b32 s4, s6, 6
	s_ashr_i32 s5, s4, 31
	s_lshl_b64 s[8:9], s[4:5], 4
	s_add_u32 s8, s11, s8
	s_addc_u32 s9, s10, s9
	s_lshl_b32 s10, s7, 6
	s_ashr_i32 s11, s10, 31
	s_mul_i32 s6, s26, s11
	s_mul_hi_u32 s7, s26, s10
	s_add_i32 s6, s7, s6
	s_mul_i32 s7, s27, s10
	s_add_i32 s7, s6, s7
	s_mul_i32 s6, s26, s10
	s_lshl_b64 s[6:7], s[6:7], 4
	s_add_u32 s16, s8, s6
	s_mul_i32 s5, s30, s5
	s_mul_hi_u32 s6, s30, s4
	s_addc_u32 s17, s9, s7
	s_add_i32 s5, s6, s5
	s_mul_i32 s6, s31, s4
	s_add_i32 s5, s5, s6
	s_mul_i32 s4, s30, s4
	s_lshl_b64 s[4:5], s[4:5], 4
	s_add_u32 s7, s12, s4
	s_addc_u32 s6, s13, s5
	v_mad_u64_u32 v[0:1], s[4:5], s30, v8, 0
	s_mul_i32 s4, s18, s11
	s_mul_hi_u32 s5, s18, s10
	s_add_i32 s8, s5, s4
	v_mad_u64_u32 v[1:2], s[4:5], s31, v8, v[1:2]
	v_mov_b32_e32 v2, s6
	v_lshrrev_b32_e32 v9, 4, v3
	v_lshlrev_b64 v[0:1], 4, v[0:1]
	v_and_b32_e32 v14, 0x1ffe, v9
	v_add_co_u32_e32 v0, vcc, s7, v0
	v_addc_co_u32_e32 v1, vcc, v2, v1, vcc
	global_load_dwordx4 v[0:3], v[0:1], off
	v_mad_u64_u32 v[4:5], s[4:5], s18, v14, 0
	s_mul_i32 s9, s19, s10
	s_add_i32 s9, s8, s9
	s_mul_i32 s8, s18, s10
	v_mad_u64_u32 v[5:6], s[10:11], s19, v14, v[5:6]
	s_lshl_b64 s[4:5], s[26:27], 4
	s_lshl_b64 s[8:9], s[8:9], 4
	s_add_u32 s10, s15, s8
	v_lshlrev_b64 v[4:5], 4, v[4:5]
	s_addc_u32 s11, s14, s9
	v_mov_b32_e32 v10, s11
	v_add_co_u32_e32 v4, vcc, s10, v4
	v_addc_co_u32_e32 v5, vcc, v10, v5, vcc
	v_mad_u64_u32 v[6:7], s[8:9], s26, v14, 0
	global_load_dwordx4 v[10:13], v[4:5], off
	v_mov_b32_e32 v4, v7
	v_mad_u64_u32 v[4:5], s[8:9], s27, v14, v[4:5]
	v_mov_b32_e32 v7, v4
	v_lshlrev_b64 v[4:5], 4, v[6:7]
	v_mov_b32_e32 v6, s17
	v_add_co_u32_e32 v4, vcc, s16, v4
	v_addc_co_u32_e32 v5, vcc, v6, v5, vcc
	v_lshlrev_b32_e32 v6, 4, v8
	v_add_co_u32_e32 v4, vcc, v4, v6
	v_addc_co_u32_e32 v5, vcc, 0, v5, vcc
	global_load_dwordx4 v[14:17], v[4:5], off
	s_waitcnt vmcnt(2)
	v_mul_f64 v[6:7], s[0:1], v[2:3]
	v_mul_f64 v[2:3], s[2:3], v[2:3]
	v_fma_f64 v[6:7], s[2:3], v[0:1], v[6:7]
	v_fma_f64 v[18:19], s[0:1], v[0:1], -v[2:3]
	s_waitcnt vmcnt(1)
	v_mul_f64 v[2:3], v[18:19], v[12:13]
	v_mul_f64 v[0:1], v[6:7], v[12:13]
	v_fma_f64 v[2:3], v[6:7], v[10:11], v[2:3]
	v_fma_f64 v[0:1], v[18:19], v[10:11], -v[0:1]
	s_waitcnt vmcnt(0)
	v_add_f64 v[2:3], v[2:3], v[16:17]
	v_or_b32_e32 v16, 32, v8
	v_add_f64 v[0:1], v[14:15], v[0:1]
	v_mad_u64_u32 v[14:15], s[8:9], s30, v16, 0
	v_mov_b32_e32 v8, v15
	v_mad_u64_u32 v[15:16], s[8:9], s31, v16, v[8:9]
	v_mov_b32_e32 v8, s6
	v_lshlrev_b64 v[14:15], 4, v[14:15]
	v_add_co_u32_e32 v14, vcc, s7, v14
	v_addc_co_u32_e32 v15, vcc, v8, v15, vcc
	global_load_dwordx4 v[14:17], v[14:15], off
	s_waitcnt vmcnt(0)
	v_mul_f64 v[20:21], s[0:1], v[16:17]
	v_mul_f64 v[16:17], s[2:3], v[16:17]
	v_fma_f64 v[20:21], s[2:3], v[14:15], v[20:21]
	v_fma_f64 v[14:15], s[0:1], v[14:15], -v[16:17]
	v_mul_f64 v[16:17], v[20:21], v[12:13]
	v_mul_f64 v[12:13], v[14:15], v[12:13]
	v_fma_f64 v[16:17], v[14:15], v[10:11], -v[16:17]
	v_fma_f64 v[22:23], v[20:21], v[10:11], v[12:13]
	v_or_b32_e32 v10, 1, v9
	v_mad_u64_u32 v[8:9], s[0:1], s18, v10, 0
	v_mad_u64_u32 v[9:10], s[0:1], s19, v10, v[9:10]
	v_mov_b32_e32 v10, s11
	v_lshlrev_b64 v[8:9], 4, v[8:9]
	v_add_co_u32_e32 v8, vcc, s10, v8
	v_addc_co_u32_e32 v9, vcc, v10, v9, vcc
	global_load_dwordx4 v[8:11], v[8:9], off
	v_add_co_u32_e32 v26, vcc, s4, v4
	s_waitcnt vmcnt(0)
	v_mul_f64 v[12:13], v[6:7], v[10:11]
	v_fma_f64 v[12:13], v[18:19], v[8:9], -v[12:13]
	v_mul_f64 v[18:19], v[18:19], v[10:11]
	v_fma_f64 v[18:19], v[6:7], v[8:9], v[18:19]
	v_mul_f64 v[6:7], v[20:21], v[10:11]
	v_fma_f64 v[24:25], v[14:15], v[8:9], -v[6:7]
	v_mul_f64 v[6:7], v[14:15], v[10:11]
	v_fma_f64 v[20:21], v[20:21], v[8:9], v[6:7]
	v_mov_b32_e32 v6, s5
	v_addc_co_u32_e32 v27, vcc, v5, v6, vcc
	global_load_dwordx4 v[6:9], v[26:27], off
	s_waitcnt vmcnt(0)
	v_add_f64 v[6:7], v[6:7], v[12:13]
	global_load_dwordx4 v[10:13], v[4:5], off offset:512
	v_add_f64 v[8:9], v[18:19], v[8:9]
	s_waitcnt vmcnt(0)
	v_add_f64 v[10:11], v[10:11], v[16:17]
	global_load_dwordx4 v[14:17], v[26:27], off offset:512
	v_add_f64 v[12:13], v[22:23], v[12:13]
	s_waitcnt vmcnt(0)
	v_add_f64 v[14:15], v[14:15], v[24:25]
	v_add_f64 v[16:17], v[20:21], v[16:17]
	global_store_dwordx4 v[4:5], v[0:3], off
	global_store_dwordx4 v[26:27], v[6:9], off
	global_store_dwordx4 v[4:5], v[10:13], off offset:512
	global_store_dwordx4 v[26:27], v[14:17], off offset:512
.LBB21_6:
	s_endpgm
	.section	.rodata,"a",@progbits
	.p2align	6, 0x0
	.amdhsa_kernel _ZL34rocblas_ger_double_buffered_kernelILb0ELi64ELi16ELi2E19rocblas_complex_numIdE24rocblas_internal_val_ptrIS1_EPKS1_PS1_EvbiiT4_lT5_lllS8_lllT6_lmli
		.amdhsa_group_segment_fixed_size 0
		.amdhsa_private_segment_fixed_size 0
		.amdhsa_kernarg_size 140
		.amdhsa_user_sgpr_count 6
		.amdhsa_user_sgpr_private_segment_buffer 1
		.amdhsa_user_sgpr_dispatch_ptr 0
		.amdhsa_user_sgpr_queue_ptr 0
		.amdhsa_user_sgpr_kernarg_segment_ptr 1
		.amdhsa_user_sgpr_dispatch_id 0
		.amdhsa_user_sgpr_flat_scratch_init 0
		.amdhsa_user_sgpr_private_segment_size 0
		.amdhsa_uses_dynamic_stack 0
		.amdhsa_system_sgpr_private_segment_wavefront_offset 0
		.amdhsa_system_sgpr_workgroup_id_x 1
		.amdhsa_system_sgpr_workgroup_id_y 1
		.amdhsa_system_sgpr_workgroup_id_z 1
		.amdhsa_system_sgpr_workgroup_info 0
		.amdhsa_system_vgpr_workitem_id 1
		.amdhsa_next_free_vgpr 28
		.amdhsa_next_free_sgpr 36
		.amdhsa_reserve_vcc 1
		.amdhsa_reserve_flat_scratch 0
		.amdhsa_float_round_mode_32 0
		.amdhsa_float_round_mode_16_64 0
		.amdhsa_float_denorm_mode_32 3
		.amdhsa_float_denorm_mode_16_64 3
		.amdhsa_dx10_clamp 1
		.amdhsa_ieee_mode 1
		.amdhsa_fp16_overflow 0
		.amdhsa_exception_fp_ieee_invalid_op 0
		.amdhsa_exception_fp_denorm_src 0
		.amdhsa_exception_fp_ieee_div_zero 0
		.amdhsa_exception_fp_ieee_overflow 0
		.amdhsa_exception_fp_ieee_underflow 0
		.amdhsa_exception_fp_ieee_inexact 0
		.amdhsa_exception_int_div_zero 0
	.end_amdhsa_kernel
	.section	.text._ZL34rocblas_ger_double_buffered_kernelILb0ELi64ELi16ELi2E19rocblas_complex_numIdE24rocblas_internal_val_ptrIS1_EPKS1_PS1_EvbiiT4_lT5_lllS8_lllT6_lmli,"axG",@progbits,_ZL34rocblas_ger_double_buffered_kernelILb0ELi64ELi16ELi2E19rocblas_complex_numIdE24rocblas_internal_val_ptrIS1_EPKS1_PS1_EvbiiT4_lT5_lllS8_lllT6_lmli,comdat
.Lfunc_end21:
	.size	_ZL34rocblas_ger_double_buffered_kernelILb0ELi64ELi16ELi2E19rocblas_complex_numIdE24rocblas_internal_val_ptrIS1_EPKS1_PS1_EvbiiT4_lT5_lllS8_lllT6_lmli, .Lfunc_end21-_ZL34rocblas_ger_double_buffered_kernelILb0ELi64ELi16ELi2E19rocblas_complex_numIdE24rocblas_internal_val_ptrIS1_EPKS1_PS1_EvbiiT4_lT5_lllS8_lllT6_lmli
                                        ; -- End function
	.set _ZL34rocblas_ger_double_buffered_kernelILb0ELi64ELi16ELi2E19rocblas_complex_numIdE24rocblas_internal_val_ptrIS1_EPKS1_PS1_EvbiiT4_lT5_lllS8_lllT6_lmli.num_vgpr, 28
	.set _ZL34rocblas_ger_double_buffered_kernelILb0ELi64ELi16ELi2E19rocblas_complex_numIdE24rocblas_internal_val_ptrIS1_EPKS1_PS1_EvbiiT4_lT5_lllS8_lllT6_lmli.num_agpr, 0
	.set _ZL34rocblas_ger_double_buffered_kernelILb0ELi64ELi16ELi2E19rocblas_complex_numIdE24rocblas_internal_val_ptrIS1_EPKS1_PS1_EvbiiT4_lT5_lllS8_lllT6_lmli.numbered_sgpr, 36
	.set _ZL34rocblas_ger_double_buffered_kernelILb0ELi64ELi16ELi2E19rocblas_complex_numIdE24rocblas_internal_val_ptrIS1_EPKS1_PS1_EvbiiT4_lT5_lllS8_lllT6_lmli.num_named_barrier, 0
	.set _ZL34rocblas_ger_double_buffered_kernelILb0ELi64ELi16ELi2E19rocblas_complex_numIdE24rocblas_internal_val_ptrIS1_EPKS1_PS1_EvbiiT4_lT5_lllS8_lllT6_lmli.private_seg_size, 0
	.set _ZL34rocblas_ger_double_buffered_kernelILb0ELi64ELi16ELi2E19rocblas_complex_numIdE24rocblas_internal_val_ptrIS1_EPKS1_PS1_EvbiiT4_lT5_lllS8_lllT6_lmli.uses_vcc, 1
	.set _ZL34rocblas_ger_double_buffered_kernelILb0ELi64ELi16ELi2E19rocblas_complex_numIdE24rocblas_internal_val_ptrIS1_EPKS1_PS1_EvbiiT4_lT5_lllS8_lllT6_lmli.uses_flat_scratch, 0
	.set _ZL34rocblas_ger_double_buffered_kernelILb0ELi64ELi16ELi2E19rocblas_complex_numIdE24rocblas_internal_val_ptrIS1_EPKS1_PS1_EvbiiT4_lT5_lllS8_lllT6_lmli.has_dyn_sized_stack, 0
	.set _ZL34rocblas_ger_double_buffered_kernelILb0ELi64ELi16ELi2E19rocblas_complex_numIdE24rocblas_internal_val_ptrIS1_EPKS1_PS1_EvbiiT4_lT5_lllS8_lllT6_lmli.has_recursion, 0
	.set _ZL34rocblas_ger_double_buffered_kernelILb0ELi64ELi16ELi2E19rocblas_complex_numIdE24rocblas_internal_val_ptrIS1_EPKS1_PS1_EvbiiT4_lT5_lllS8_lllT6_lmli.has_indirect_call, 0
	.section	.AMDGPU.csdata,"",@progbits
; Kernel info:
; codeLenInByte = 1072
; TotalNumSgprs: 40
; NumVgprs: 28
; ScratchSize: 0
; MemoryBound: 0
; FloatMode: 240
; IeeeMode: 1
; LDSByteSize: 0 bytes/workgroup (compile time only)
; SGPRBlocks: 4
; VGPRBlocks: 6
; NumSGPRsForWavesPerEU: 40
; NumVGPRsForWavesPerEU: 28
; Occupancy: 9
; WaveLimiterHint : 0
; COMPUTE_PGM_RSRC2:SCRATCH_EN: 0
; COMPUTE_PGM_RSRC2:USER_SGPR: 6
; COMPUTE_PGM_RSRC2:TRAP_HANDLER: 0
; COMPUTE_PGM_RSRC2:TGID_X_EN: 1
; COMPUTE_PGM_RSRC2:TGID_Y_EN: 1
; COMPUTE_PGM_RSRC2:TGID_Z_EN: 1
; COMPUTE_PGM_RSRC2:TIDIG_COMP_CNT: 1
	.section	.text._ZL26rocblas_sger_gfx942_kernelILi256E19rocblas_complex_numIdEPKS1_S3_PS1_EviiT1_lT2_lllS6_lllT3_lll,"axG",@progbits,_ZL26rocblas_sger_gfx942_kernelILi256E19rocblas_complex_numIdEPKS1_S3_PS1_EviiT1_lT2_lllS6_lllT3_lll,comdat
	.globl	_ZL26rocblas_sger_gfx942_kernelILi256E19rocblas_complex_numIdEPKS1_S3_PS1_EviiT1_lT2_lllS6_lllT3_lll ; -- Begin function _ZL26rocblas_sger_gfx942_kernelILi256E19rocblas_complex_numIdEPKS1_S3_PS1_EviiT1_lT2_lllS6_lllT3_lll
	.p2align	8
	.type	_ZL26rocblas_sger_gfx942_kernelILi256E19rocblas_complex_numIdEPKS1_S3_PS1_EviiT1_lT2_lllS6_lllT3_lll,@function
_ZL26rocblas_sger_gfx942_kernelILi256E19rocblas_complex_numIdEPKS1_S3_PS1_EviiT1_lT2_lllS6_lllT3_lll: ; @_ZL26rocblas_sger_gfx942_kernelILi256E19rocblas_complex_numIdEPKS1_S3_PS1_EviiT1_lT2_lllS6_lllT3_lll
; %bb.0:
	s_endpgm
	.section	.rodata,"a",@progbits
	.p2align	6, 0x0
	.amdhsa_kernel _ZL26rocblas_sger_gfx942_kernelILi256E19rocblas_complex_numIdEPKS1_S3_PS1_EviiT1_lT2_lllS6_lllT3_lll
		.amdhsa_group_segment_fixed_size 0
		.amdhsa_private_segment_fixed_size 0
		.amdhsa_kernarg_size 120
		.amdhsa_user_sgpr_count 6
		.amdhsa_user_sgpr_private_segment_buffer 1
		.amdhsa_user_sgpr_dispatch_ptr 0
		.amdhsa_user_sgpr_queue_ptr 0
		.amdhsa_user_sgpr_kernarg_segment_ptr 1
		.amdhsa_user_sgpr_dispatch_id 0
		.amdhsa_user_sgpr_flat_scratch_init 0
		.amdhsa_user_sgpr_private_segment_size 0
		.amdhsa_uses_dynamic_stack 0
		.amdhsa_system_sgpr_private_segment_wavefront_offset 0
		.amdhsa_system_sgpr_workgroup_id_x 1
		.amdhsa_system_sgpr_workgroup_id_y 0
		.amdhsa_system_sgpr_workgroup_id_z 0
		.amdhsa_system_sgpr_workgroup_info 0
		.amdhsa_system_vgpr_workitem_id 0
		.amdhsa_next_free_vgpr 1
		.amdhsa_next_free_sgpr 0
		.amdhsa_reserve_vcc 0
		.amdhsa_reserve_flat_scratch 0
		.amdhsa_float_round_mode_32 0
		.amdhsa_float_round_mode_16_64 0
		.amdhsa_float_denorm_mode_32 3
		.amdhsa_float_denorm_mode_16_64 3
		.amdhsa_dx10_clamp 1
		.amdhsa_ieee_mode 1
		.amdhsa_fp16_overflow 0
		.amdhsa_exception_fp_ieee_invalid_op 0
		.amdhsa_exception_fp_denorm_src 0
		.amdhsa_exception_fp_ieee_div_zero 0
		.amdhsa_exception_fp_ieee_overflow 0
		.amdhsa_exception_fp_ieee_underflow 0
		.amdhsa_exception_fp_ieee_inexact 0
		.amdhsa_exception_int_div_zero 0
	.end_amdhsa_kernel
	.section	.text._ZL26rocblas_sger_gfx942_kernelILi256E19rocblas_complex_numIdEPKS1_S3_PS1_EviiT1_lT2_lllS6_lllT3_lll,"axG",@progbits,_ZL26rocblas_sger_gfx942_kernelILi256E19rocblas_complex_numIdEPKS1_S3_PS1_EviiT1_lT2_lllS6_lllT3_lll,comdat
.Lfunc_end22:
	.size	_ZL26rocblas_sger_gfx942_kernelILi256E19rocblas_complex_numIdEPKS1_S3_PS1_EviiT1_lT2_lllS6_lllT3_lll, .Lfunc_end22-_ZL26rocblas_sger_gfx942_kernelILi256E19rocblas_complex_numIdEPKS1_S3_PS1_EviiT1_lT2_lllS6_lllT3_lll
                                        ; -- End function
	.set _ZL26rocblas_sger_gfx942_kernelILi256E19rocblas_complex_numIdEPKS1_S3_PS1_EviiT1_lT2_lllS6_lllT3_lll.num_vgpr, 0
	.set _ZL26rocblas_sger_gfx942_kernelILi256E19rocblas_complex_numIdEPKS1_S3_PS1_EviiT1_lT2_lllS6_lllT3_lll.num_agpr, 0
	.set _ZL26rocblas_sger_gfx942_kernelILi256E19rocblas_complex_numIdEPKS1_S3_PS1_EviiT1_lT2_lllS6_lllT3_lll.numbered_sgpr, 0
	.set _ZL26rocblas_sger_gfx942_kernelILi256E19rocblas_complex_numIdEPKS1_S3_PS1_EviiT1_lT2_lllS6_lllT3_lll.num_named_barrier, 0
	.set _ZL26rocblas_sger_gfx942_kernelILi256E19rocblas_complex_numIdEPKS1_S3_PS1_EviiT1_lT2_lllS6_lllT3_lll.private_seg_size, 0
	.set _ZL26rocblas_sger_gfx942_kernelILi256E19rocblas_complex_numIdEPKS1_S3_PS1_EviiT1_lT2_lllS6_lllT3_lll.uses_vcc, 0
	.set _ZL26rocblas_sger_gfx942_kernelILi256E19rocblas_complex_numIdEPKS1_S3_PS1_EviiT1_lT2_lllS6_lllT3_lll.uses_flat_scratch, 0
	.set _ZL26rocblas_sger_gfx942_kernelILi256E19rocblas_complex_numIdEPKS1_S3_PS1_EviiT1_lT2_lllS6_lllT3_lll.has_dyn_sized_stack, 0
	.set _ZL26rocblas_sger_gfx942_kernelILi256E19rocblas_complex_numIdEPKS1_S3_PS1_EviiT1_lT2_lllS6_lllT3_lll.has_recursion, 0
	.set _ZL26rocblas_sger_gfx942_kernelILi256E19rocblas_complex_numIdEPKS1_S3_PS1_EviiT1_lT2_lllS6_lllT3_lll.has_indirect_call, 0
	.section	.AMDGPU.csdata,"",@progbits
; Kernel info:
; codeLenInByte = 4
; TotalNumSgprs: 4
; NumVgprs: 0
; ScratchSize: 0
; MemoryBound: 0
; FloatMode: 240
; IeeeMode: 1
; LDSByteSize: 0 bytes/workgroup (compile time only)
; SGPRBlocks: 0
; VGPRBlocks: 0
; NumSGPRsForWavesPerEU: 4
; NumVGPRsForWavesPerEU: 1
; Occupancy: 10
; WaveLimiterHint : 0
; COMPUTE_PGM_RSRC2:SCRATCH_EN: 0
; COMPUTE_PGM_RSRC2:USER_SGPR: 6
; COMPUTE_PGM_RSRC2:TRAP_HANDLER: 0
; COMPUTE_PGM_RSRC2:TGID_X_EN: 1
; COMPUTE_PGM_RSRC2:TGID_Y_EN: 0
; COMPUTE_PGM_RSRC2:TGID_Z_EN: 0
; COMPUTE_PGM_RSRC2:TIDIG_COMP_CNT: 0
	.section	.text._ZL26rocblas_sger_gfx942_kernelILi256E19rocblas_complex_numIdES1_PKS1_PS1_EviiT1_lT2_lllS6_lllT3_lll,"axG",@progbits,_ZL26rocblas_sger_gfx942_kernelILi256E19rocblas_complex_numIdES1_PKS1_PS1_EviiT1_lT2_lllS6_lllT3_lll,comdat
	.globl	_ZL26rocblas_sger_gfx942_kernelILi256E19rocblas_complex_numIdES1_PKS1_PS1_EviiT1_lT2_lllS6_lllT3_lll ; -- Begin function _ZL26rocblas_sger_gfx942_kernelILi256E19rocblas_complex_numIdES1_PKS1_PS1_EviiT1_lT2_lllS6_lllT3_lll
	.p2align	8
	.type	_ZL26rocblas_sger_gfx942_kernelILi256E19rocblas_complex_numIdES1_PKS1_PS1_EviiT1_lT2_lllS6_lllT3_lll,@function
_ZL26rocblas_sger_gfx942_kernelILi256E19rocblas_complex_numIdES1_PKS1_PS1_EviiT1_lT2_lllS6_lllT3_lll: ; @_ZL26rocblas_sger_gfx942_kernelILi256E19rocblas_complex_numIdES1_PKS1_PS1_EviiT1_lT2_lllS6_lllT3_lll
; %bb.0:
	s_endpgm
	.section	.rodata,"a",@progbits
	.p2align	6, 0x0
	.amdhsa_kernel _ZL26rocblas_sger_gfx942_kernelILi256E19rocblas_complex_numIdES1_PKS1_PS1_EviiT1_lT2_lllS6_lllT3_lll
		.amdhsa_group_segment_fixed_size 0
		.amdhsa_private_segment_fixed_size 0
		.amdhsa_kernarg_size 128
		.amdhsa_user_sgpr_count 6
		.amdhsa_user_sgpr_private_segment_buffer 1
		.amdhsa_user_sgpr_dispatch_ptr 0
		.amdhsa_user_sgpr_queue_ptr 0
		.amdhsa_user_sgpr_kernarg_segment_ptr 1
		.amdhsa_user_sgpr_dispatch_id 0
		.amdhsa_user_sgpr_flat_scratch_init 0
		.amdhsa_user_sgpr_private_segment_size 0
		.amdhsa_uses_dynamic_stack 0
		.amdhsa_system_sgpr_private_segment_wavefront_offset 0
		.amdhsa_system_sgpr_workgroup_id_x 1
		.amdhsa_system_sgpr_workgroup_id_y 0
		.amdhsa_system_sgpr_workgroup_id_z 0
		.amdhsa_system_sgpr_workgroup_info 0
		.amdhsa_system_vgpr_workitem_id 0
		.amdhsa_next_free_vgpr 1
		.amdhsa_next_free_sgpr 0
		.amdhsa_reserve_vcc 0
		.amdhsa_reserve_flat_scratch 0
		.amdhsa_float_round_mode_32 0
		.amdhsa_float_round_mode_16_64 0
		.amdhsa_float_denorm_mode_32 3
		.amdhsa_float_denorm_mode_16_64 3
		.amdhsa_dx10_clamp 1
		.amdhsa_ieee_mode 1
		.amdhsa_fp16_overflow 0
		.amdhsa_exception_fp_ieee_invalid_op 0
		.amdhsa_exception_fp_denorm_src 0
		.amdhsa_exception_fp_ieee_div_zero 0
		.amdhsa_exception_fp_ieee_overflow 0
		.amdhsa_exception_fp_ieee_underflow 0
		.amdhsa_exception_fp_ieee_inexact 0
		.amdhsa_exception_int_div_zero 0
	.end_amdhsa_kernel
	.section	.text._ZL26rocblas_sger_gfx942_kernelILi256E19rocblas_complex_numIdES1_PKS1_PS1_EviiT1_lT2_lllS6_lllT3_lll,"axG",@progbits,_ZL26rocblas_sger_gfx942_kernelILi256E19rocblas_complex_numIdES1_PKS1_PS1_EviiT1_lT2_lllS6_lllT3_lll,comdat
.Lfunc_end23:
	.size	_ZL26rocblas_sger_gfx942_kernelILi256E19rocblas_complex_numIdES1_PKS1_PS1_EviiT1_lT2_lllS6_lllT3_lll, .Lfunc_end23-_ZL26rocblas_sger_gfx942_kernelILi256E19rocblas_complex_numIdES1_PKS1_PS1_EviiT1_lT2_lllS6_lllT3_lll
                                        ; -- End function
	.set _ZL26rocblas_sger_gfx942_kernelILi256E19rocblas_complex_numIdES1_PKS1_PS1_EviiT1_lT2_lllS6_lllT3_lll.num_vgpr, 0
	.set _ZL26rocblas_sger_gfx942_kernelILi256E19rocblas_complex_numIdES1_PKS1_PS1_EviiT1_lT2_lllS6_lllT3_lll.num_agpr, 0
	.set _ZL26rocblas_sger_gfx942_kernelILi256E19rocblas_complex_numIdES1_PKS1_PS1_EviiT1_lT2_lllS6_lllT3_lll.numbered_sgpr, 0
	.set _ZL26rocblas_sger_gfx942_kernelILi256E19rocblas_complex_numIdES1_PKS1_PS1_EviiT1_lT2_lllS6_lllT3_lll.num_named_barrier, 0
	.set _ZL26rocblas_sger_gfx942_kernelILi256E19rocblas_complex_numIdES1_PKS1_PS1_EviiT1_lT2_lllS6_lllT3_lll.private_seg_size, 0
	.set _ZL26rocblas_sger_gfx942_kernelILi256E19rocblas_complex_numIdES1_PKS1_PS1_EviiT1_lT2_lllS6_lllT3_lll.uses_vcc, 0
	.set _ZL26rocblas_sger_gfx942_kernelILi256E19rocblas_complex_numIdES1_PKS1_PS1_EviiT1_lT2_lllS6_lllT3_lll.uses_flat_scratch, 0
	.set _ZL26rocblas_sger_gfx942_kernelILi256E19rocblas_complex_numIdES1_PKS1_PS1_EviiT1_lT2_lllS6_lllT3_lll.has_dyn_sized_stack, 0
	.set _ZL26rocblas_sger_gfx942_kernelILi256E19rocblas_complex_numIdES1_PKS1_PS1_EviiT1_lT2_lllS6_lllT3_lll.has_recursion, 0
	.set _ZL26rocblas_sger_gfx942_kernelILi256E19rocblas_complex_numIdES1_PKS1_PS1_EviiT1_lT2_lllS6_lllT3_lll.has_indirect_call, 0
	.section	.AMDGPU.csdata,"",@progbits
; Kernel info:
; codeLenInByte = 4
; TotalNumSgprs: 4
; NumVgprs: 0
; ScratchSize: 0
; MemoryBound: 0
; FloatMode: 240
; IeeeMode: 1
; LDSByteSize: 0 bytes/workgroup (compile time only)
; SGPRBlocks: 0
; VGPRBlocks: 0
; NumSGPRsForWavesPerEU: 4
; NumVGPRsForWavesPerEU: 1
; Occupancy: 10
; WaveLimiterHint : 0
; COMPUTE_PGM_RSRC2:SCRATCH_EN: 0
; COMPUTE_PGM_RSRC2:USER_SGPR: 6
; COMPUTE_PGM_RSRC2:TRAP_HANDLER: 0
; COMPUTE_PGM_RSRC2:TGID_X_EN: 1
; COMPUTE_PGM_RSRC2:TGID_Y_EN: 0
; COMPUTE_PGM_RSRC2:TGID_Z_EN: 0
; COMPUTE_PGM_RSRC2:TIDIG_COMP_CNT: 0
	.section	.text._ZL19rocblas_sger_kernelILi1024E19rocblas_complex_numIdEPKS1_S3_PS1_EviiT1_lT2_lllS6_lllT3_lmli,"axG",@progbits,_ZL19rocblas_sger_kernelILi1024E19rocblas_complex_numIdEPKS1_S3_PS1_EviiT1_lT2_lllS6_lllT3_lmli,comdat
	.globl	_ZL19rocblas_sger_kernelILi1024E19rocblas_complex_numIdEPKS1_S3_PS1_EviiT1_lT2_lllS6_lllT3_lmli ; -- Begin function _ZL19rocblas_sger_kernelILi1024E19rocblas_complex_numIdEPKS1_S3_PS1_EviiT1_lT2_lllS6_lllT3_lmli
	.p2align	8
	.type	_ZL19rocblas_sger_kernelILi1024E19rocblas_complex_numIdEPKS1_S3_PS1_EviiT1_lT2_lllS6_lllT3_lmli,@function
_ZL19rocblas_sger_kernelILi1024E19rocblas_complex_numIdEPKS1_S3_PS1_EviiT1_lT2_lllS6_lllT3_lmli: ; @_ZL19rocblas_sger_kernelILi1024E19rocblas_complex_numIdEPKS1_S3_PS1_EviiT1_lT2_lllS6_lllT3_lmli
; %bb.0:
	s_load_dwordx4 s[0:3], s[4:5], 0x8
	s_waitcnt lgkmcnt(0)
	s_mul_i32 s3, s3, s7
	s_mul_hi_u32 s8, s2, s7
	s_add_i32 s3, s8, s3
	s_mul_i32 s2, s2, s7
	s_lshl_b64 s[2:3], s[2:3], 4
	s_add_u32 s8, s0, s2
	s_addc_u32 s9, s1, s3
	s_load_dwordx4 s[0:3], s[8:9], 0x0
	s_waitcnt lgkmcnt(0)
	v_cmp_neq_f64_e64 s[8:9], s[0:1], 0
	v_cmp_neq_f64_e64 s[10:11], s[2:3], 0
	s_or_b64 s[8:9], s[8:9], s[10:11]
	s_andn2_b64 vcc, exec, s[8:9]
	s_cbranch_vccnz .LBB24_4
; %bb.1:
	s_load_dword s24, s[4:5], 0x0
	s_waitcnt lgkmcnt(0)
	v_cmp_gt_i32_e32 vcc, s24, v0
	s_and_saveexec_b64 s[8:9], vcc
	s_cbranch_execz .LBB24_4
; %bb.2:
	s_load_dwordx8 s[16:23], s[4:5], 0x50
	s_load_dwordx8 s[8:15], s[4:5], 0x30
	v_cndmask_b32_e32 v9, 0, v0, vcc
	s_waitcnt lgkmcnt(0)
	s_mul_i32 s17, s17, s7
	s_mul_hi_u32 s25, s16, s7
	s_mul_i32 s16, s16, s7
	s_add_i32 s17, s25, s17
	s_lshl_b64 s[16:17], s[16:17], 4
	s_add_u32 s16, s10, s16
	s_addc_u32 s17, s11, s17
	s_lshl_b64 s[10:11], s[12:13], 4
	s_add_u32 s12, s16, s10
	s_addc_u32 s13, s17, s11
	s_ashr_i32 s16, s6, 31
	s_mul_hi_u32 s10, s14, s6
	s_mul_i32 s11, s14, s16
	s_add_i32 s10, s10, s11
	s_mul_i32 s11, s15, s6
	s_add_i32 s11, s10, s11
	s_mul_i32 s10, s14, s6
	s_lshl_b64 s[10:11], s[10:11], 4
	s_add_u32 s10, s12, s10
	s_addc_u32 s11, s13, s11
	s_load_dwordx4 s[28:31], s[10:11], 0x0
	s_nop 0
	s_load_dwordx2 s[10:11], s[4:5], 0x18
	s_load_dwordx4 s[12:15], s[4:5], 0x20
	s_waitcnt lgkmcnt(0)
	v_mov_b32_e32 v1, s30
	v_mov_b32_e32 v2, s31
	v_mul_f64 v[3:4], s[2:3], v[1:2]
	v_mul_f64 v[5:6], s[0:1], v[1:2]
	s_load_dwordx2 s[4:5], s[4:5], 0x70
	v_mov_b32_e32 v7, s28
	v_mov_b32_e32 v8, s29
	v_fma_f64 v[1:2], s[0:1], v[7:8], -v[3:4]
	s_mul_hi_u32 s0, s22, s6
	s_mul_i32 s1, s22, s16
	v_fma_f64 v[3:4], s[2:3], v[7:8], v[5:6]
	s_add_i32 s0, s0, s1
	s_mul_i32 s1, s23, s6
	s_waitcnt lgkmcnt(0)
	s_mul_i32 s2, s5, s7
	s_mul_hi_u32 s3, s4, s7
	s_add_i32 s1, s0, s1
	s_mul_i32 s0, s22, s6
	s_add_i32 s3, s3, s2
	s_mul_i32 s2, s4, s7
	s_lshl_b64 s[0:1], s[0:1], 4
	s_lshl_b64 s[2:3], s[2:3], 4
	s_add_u32 s2, s0, s2
	s_addc_u32 s3, s1, s3
	s_lshl_b64 s[0:1], s[20:21], 4
	s_add_u32 s0, s2, s0
	s_addc_u32 s1, s3, s1
	s_add_u32 s0, s18, s0
	v_lshlrev_b32_e32 v5, 4, v9
	s_addc_u32 s1, s19, s1
	v_mov_b32_e32 v6, s1
	v_add_co_u32_e32 v5, vcc, s0, v5
	v_mad_u64_u32 v[7:8], s[0:1], s14, v0, 0
	s_mul_i32 s2, s9, s7
	s_mul_hi_u32 s3, s8, s7
	v_mad_u64_u32 v[8:9], s[0:1], s15, v0, v[8:9]
	s_add_i32 s1, s3, s2
	s_mul_i32 s0, s8, s7
	s_lshl_b64 s[0:1], s[0:1], 4
	s_lshl_b64 s[2:3], s[12:13], 4
	s_add_u32 s2, s10, s2
	v_addc_co_u32_e32 v6, vcc, 0, v6, vcc
	s_addc_u32 s3, s11, s3
	v_add_co_u32_e32 v5, vcc, 8, v5
	v_lshlrev_b64 v[7:8], 4, v[7:8]
	s_add_u32 s0, s2, s0
	v_addc_co_u32_e32 v6, vcc, 0, v6, vcc
	s_addc_u32 s1, s3, s1
	v_mov_b32_e32 v9, s1
	v_add_co_u32_e32 v7, vcc, s0, v7
	v_addc_co_u32_e32 v8, vcc, v9, v8, vcc
	v_add_co_u32_e32 v7, vcc, 8, v7
	s_lshl_b64 s[0:1], s[14:15], 14
	v_addc_co_u32_e32 v8, vcc, 0, v8, vcc
	s_mov_b64 s[2:3], 0
	v_mov_b32_e32 v9, s1
.LBB24_3:                               ; =>This Inner Loop Header: Depth=1
	global_load_dwordx4 v[10:13], v[7:8], off offset:-8
	v_add_co_u32_e32 v7, vcc, s0, v7
	v_addc_co_u32_e32 v8, vcc, v8, v9, vcc
	v_add_u32_e32 v0, 0x400, v0
	v_cmp_le_i32_e32 vcc, s24, v0
	s_or_b64 s[2:3], vcc, s[2:3]
	s_waitcnt vmcnt(0)
	v_mul_f64 v[14:15], v[3:4], v[12:13]
	v_mul_f64 v[12:13], v[1:2], v[12:13]
	v_fma_f64 v[14:15], v[1:2], v[10:11], -v[14:15]
	v_fma_f64 v[16:17], v[3:4], v[10:11], v[12:13]
	global_load_dwordx4 v[10:13], v[5:6], off offset:-8
	s_waitcnt vmcnt(0)
	v_add_f64 v[10:11], v[10:11], v[14:15]
	v_add_f64 v[12:13], v[16:17], v[12:13]
	global_store_dwordx4 v[5:6], v[10:13], off offset:-8
	v_add_co_u32_e32 v5, vcc, 0x4000, v5
	v_addc_co_u32_e32 v6, vcc, 0, v6, vcc
	s_andn2_b64 exec, exec, s[2:3]
	s_cbranch_execnz .LBB24_3
.LBB24_4:
	s_endpgm
	.section	.rodata,"a",@progbits
	.p2align	6, 0x0
	.amdhsa_kernel _ZL19rocblas_sger_kernelILi1024E19rocblas_complex_numIdEPKS1_S3_PS1_EviiT1_lT2_lllS6_lllT3_lmli
		.amdhsa_group_segment_fixed_size 0
		.amdhsa_private_segment_fixed_size 0
		.amdhsa_kernarg_size 124
		.amdhsa_user_sgpr_count 6
		.amdhsa_user_sgpr_private_segment_buffer 1
		.amdhsa_user_sgpr_dispatch_ptr 0
		.amdhsa_user_sgpr_queue_ptr 0
		.amdhsa_user_sgpr_kernarg_segment_ptr 1
		.amdhsa_user_sgpr_dispatch_id 0
		.amdhsa_user_sgpr_flat_scratch_init 0
		.amdhsa_user_sgpr_private_segment_size 0
		.amdhsa_uses_dynamic_stack 0
		.amdhsa_system_sgpr_private_segment_wavefront_offset 0
		.amdhsa_system_sgpr_workgroup_id_x 1
		.amdhsa_system_sgpr_workgroup_id_y 0
		.amdhsa_system_sgpr_workgroup_id_z 1
		.amdhsa_system_sgpr_workgroup_info 0
		.amdhsa_system_vgpr_workitem_id 0
		.amdhsa_next_free_vgpr 18
		.amdhsa_next_free_sgpr 32
		.amdhsa_reserve_vcc 1
		.amdhsa_reserve_flat_scratch 0
		.amdhsa_float_round_mode_32 0
		.amdhsa_float_round_mode_16_64 0
		.amdhsa_float_denorm_mode_32 3
		.amdhsa_float_denorm_mode_16_64 3
		.amdhsa_dx10_clamp 1
		.amdhsa_ieee_mode 1
		.amdhsa_fp16_overflow 0
		.amdhsa_exception_fp_ieee_invalid_op 0
		.amdhsa_exception_fp_denorm_src 0
		.amdhsa_exception_fp_ieee_div_zero 0
		.amdhsa_exception_fp_ieee_overflow 0
		.amdhsa_exception_fp_ieee_underflow 0
		.amdhsa_exception_fp_ieee_inexact 0
		.amdhsa_exception_int_div_zero 0
	.end_amdhsa_kernel
	.section	.text._ZL19rocblas_sger_kernelILi1024E19rocblas_complex_numIdEPKS1_S3_PS1_EviiT1_lT2_lllS6_lllT3_lmli,"axG",@progbits,_ZL19rocblas_sger_kernelILi1024E19rocblas_complex_numIdEPKS1_S3_PS1_EviiT1_lT2_lllS6_lllT3_lmli,comdat
.Lfunc_end24:
	.size	_ZL19rocblas_sger_kernelILi1024E19rocblas_complex_numIdEPKS1_S3_PS1_EviiT1_lT2_lllS6_lllT3_lmli, .Lfunc_end24-_ZL19rocblas_sger_kernelILi1024E19rocblas_complex_numIdEPKS1_S3_PS1_EviiT1_lT2_lllS6_lllT3_lmli
                                        ; -- End function
	.set _ZL19rocblas_sger_kernelILi1024E19rocblas_complex_numIdEPKS1_S3_PS1_EviiT1_lT2_lllS6_lllT3_lmli.num_vgpr, 18
	.set _ZL19rocblas_sger_kernelILi1024E19rocblas_complex_numIdEPKS1_S3_PS1_EviiT1_lT2_lllS6_lllT3_lmli.num_agpr, 0
	.set _ZL19rocblas_sger_kernelILi1024E19rocblas_complex_numIdEPKS1_S3_PS1_EviiT1_lT2_lllS6_lllT3_lmli.numbered_sgpr, 32
	.set _ZL19rocblas_sger_kernelILi1024E19rocblas_complex_numIdEPKS1_S3_PS1_EviiT1_lT2_lllS6_lllT3_lmli.num_named_barrier, 0
	.set _ZL19rocblas_sger_kernelILi1024E19rocblas_complex_numIdEPKS1_S3_PS1_EviiT1_lT2_lllS6_lllT3_lmli.private_seg_size, 0
	.set _ZL19rocblas_sger_kernelILi1024E19rocblas_complex_numIdEPKS1_S3_PS1_EviiT1_lT2_lllS6_lllT3_lmli.uses_vcc, 1
	.set _ZL19rocblas_sger_kernelILi1024E19rocblas_complex_numIdEPKS1_S3_PS1_EviiT1_lT2_lllS6_lllT3_lmli.uses_flat_scratch, 0
	.set _ZL19rocblas_sger_kernelILi1024E19rocblas_complex_numIdEPKS1_S3_PS1_EviiT1_lT2_lllS6_lllT3_lmli.has_dyn_sized_stack, 0
	.set _ZL19rocblas_sger_kernelILi1024E19rocblas_complex_numIdEPKS1_S3_PS1_EviiT1_lT2_lllS6_lllT3_lmli.has_recursion, 0
	.set _ZL19rocblas_sger_kernelILi1024E19rocblas_complex_numIdEPKS1_S3_PS1_EviiT1_lT2_lllS6_lllT3_lmli.has_indirect_call, 0
	.section	.AMDGPU.csdata,"",@progbits
; Kernel info:
; codeLenInByte = 624
; TotalNumSgprs: 36
; NumVgprs: 18
; ScratchSize: 0
; MemoryBound: 0
; FloatMode: 240
; IeeeMode: 1
; LDSByteSize: 0 bytes/workgroup (compile time only)
; SGPRBlocks: 4
; VGPRBlocks: 4
; NumSGPRsForWavesPerEU: 36
; NumVGPRsForWavesPerEU: 18
; Occupancy: 10
; WaveLimiterHint : 0
; COMPUTE_PGM_RSRC2:SCRATCH_EN: 0
; COMPUTE_PGM_RSRC2:USER_SGPR: 6
; COMPUTE_PGM_RSRC2:TRAP_HANDLER: 0
; COMPUTE_PGM_RSRC2:TGID_X_EN: 1
; COMPUTE_PGM_RSRC2:TGID_Y_EN: 0
; COMPUTE_PGM_RSRC2:TGID_Z_EN: 1
; COMPUTE_PGM_RSRC2:TIDIG_COMP_CNT: 0
	.section	.text._ZL19rocblas_sger_kernelILi1024E19rocblas_complex_numIdES1_PKS1_PS1_EviiT1_lT2_lllS6_lllT3_lmli,"axG",@progbits,_ZL19rocblas_sger_kernelILi1024E19rocblas_complex_numIdES1_PKS1_PS1_EviiT1_lT2_lllS6_lllT3_lmli,comdat
	.globl	_ZL19rocblas_sger_kernelILi1024E19rocblas_complex_numIdES1_PKS1_PS1_EviiT1_lT2_lllS6_lllT3_lmli ; -- Begin function _ZL19rocblas_sger_kernelILi1024E19rocblas_complex_numIdES1_PKS1_PS1_EviiT1_lT2_lllS6_lllT3_lmli
	.p2align	8
	.type	_ZL19rocblas_sger_kernelILi1024E19rocblas_complex_numIdES1_PKS1_PS1_EviiT1_lT2_lllS6_lllT3_lmli,@function
_ZL19rocblas_sger_kernelILi1024E19rocblas_complex_numIdES1_PKS1_PS1_EviiT1_lT2_lllS6_lllT3_lmli: ; @_ZL19rocblas_sger_kernelILi1024E19rocblas_complex_numIdES1_PKS1_PS1_EviiT1_lT2_lllS6_lllT3_lmli
; %bb.0:
	s_load_dwordx4 s[0:3], s[4:5], 0x8
	s_waitcnt lgkmcnt(0)
	v_cmp_neq_f64_e64 s[8:9], s[0:1], 0
	v_cmp_neq_f64_e64 s[10:11], s[2:3], 0
	s_or_b64 s[8:9], s[8:9], s[10:11]
	s_andn2_b64 vcc, exec, s[8:9]
	s_cbranch_vccnz .LBB25_4
; %bb.1:
	s_load_dword s24, s[4:5], 0x0
	s_waitcnt lgkmcnt(0)
	v_cmp_gt_i32_e32 vcc, s24, v0
	s_and_saveexec_b64 s[8:9], vcc
	s_cbranch_execz .LBB25_4
; %bb.2:
	s_load_dwordx8 s[16:23], s[4:5], 0x58
	s_load_dwordx8 s[8:15], s[4:5], 0x38
	v_cndmask_b32_e32 v9, 0, v0, vcc
	s_waitcnt lgkmcnt(0)
	s_mul_i32 s17, s17, s7
	s_mul_hi_u32 s25, s16, s7
	s_mul_i32 s16, s16, s7
	s_add_i32 s17, s25, s17
	s_lshl_b64 s[16:17], s[16:17], 4
	s_add_u32 s16, s10, s16
	s_addc_u32 s17, s11, s17
	s_lshl_b64 s[10:11], s[12:13], 4
	s_add_u32 s12, s16, s10
	s_addc_u32 s13, s17, s11
	s_ashr_i32 s16, s6, 31
	s_mul_hi_u32 s10, s14, s6
	s_mul_i32 s11, s14, s16
	s_add_i32 s10, s10, s11
	s_mul_i32 s11, s15, s6
	s_add_i32 s11, s10, s11
	s_mul_i32 s10, s14, s6
	s_lshl_b64 s[10:11], s[10:11], 4
	s_add_u32 s10, s12, s10
	s_addc_u32 s11, s13, s11
	s_load_dwordx4 s[28:31], s[10:11], 0x0
	s_nop 0
	s_load_dwordx2 s[10:11], s[4:5], 0x20
	s_load_dwordx4 s[12:15], s[4:5], 0x28
	s_waitcnt lgkmcnt(0)
	v_mov_b32_e32 v1, s30
	v_mov_b32_e32 v2, s31
	v_mul_f64 v[3:4], s[2:3], v[1:2]
	v_mul_f64 v[5:6], s[0:1], v[1:2]
	s_load_dwordx2 s[4:5], s[4:5], 0x78
	v_mov_b32_e32 v7, s28
	v_mov_b32_e32 v8, s29
	v_fma_f64 v[1:2], s[0:1], v[7:8], -v[3:4]
	s_mul_hi_u32 s0, s22, s6
	s_mul_i32 s1, s22, s16
	v_fma_f64 v[3:4], s[2:3], v[7:8], v[5:6]
	s_add_i32 s0, s0, s1
	s_mul_i32 s1, s23, s6
	s_waitcnt lgkmcnt(0)
	s_mul_i32 s2, s5, s7
	s_mul_hi_u32 s3, s4, s7
	s_add_i32 s1, s0, s1
	s_mul_i32 s0, s22, s6
	s_add_i32 s3, s3, s2
	s_mul_i32 s2, s4, s7
	s_lshl_b64 s[0:1], s[0:1], 4
	s_lshl_b64 s[2:3], s[2:3], 4
	s_add_u32 s2, s0, s2
	s_addc_u32 s3, s1, s3
	s_lshl_b64 s[0:1], s[20:21], 4
	s_add_u32 s0, s2, s0
	s_addc_u32 s1, s3, s1
	s_add_u32 s0, s18, s0
	v_lshlrev_b32_e32 v5, 4, v9
	s_addc_u32 s1, s19, s1
	v_mov_b32_e32 v6, s1
	v_add_co_u32_e32 v5, vcc, s0, v5
	v_mad_u64_u32 v[7:8], s[0:1], s14, v0, 0
	s_mul_i32 s2, s9, s7
	s_mul_hi_u32 s3, s8, s7
	v_mad_u64_u32 v[8:9], s[0:1], s15, v0, v[8:9]
	s_add_i32 s1, s3, s2
	s_mul_i32 s0, s8, s7
	s_lshl_b64 s[0:1], s[0:1], 4
	s_lshl_b64 s[2:3], s[12:13], 4
	s_add_u32 s2, s10, s2
	v_addc_co_u32_e32 v6, vcc, 0, v6, vcc
	s_addc_u32 s3, s11, s3
	v_add_co_u32_e32 v5, vcc, 8, v5
	v_lshlrev_b64 v[7:8], 4, v[7:8]
	s_add_u32 s0, s2, s0
	v_addc_co_u32_e32 v6, vcc, 0, v6, vcc
	s_addc_u32 s1, s3, s1
	v_mov_b32_e32 v9, s1
	v_add_co_u32_e32 v7, vcc, s0, v7
	v_addc_co_u32_e32 v8, vcc, v9, v8, vcc
	v_add_co_u32_e32 v7, vcc, 8, v7
	s_lshl_b64 s[0:1], s[14:15], 14
	v_addc_co_u32_e32 v8, vcc, 0, v8, vcc
	s_mov_b64 s[2:3], 0
	v_mov_b32_e32 v9, s1
.LBB25_3:                               ; =>This Inner Loop Header: Depth=1
	global_load_dwordx4 v[10:13], v[7:8], off offset:-8
	v_add_co_u32_e32 v7, vcc, s0, v7
	v_addc_co_u32_e32 v8, vcc, v8, v9, vcc
	v_add_u32_e32 v0, 0x400, v0
	v_cmp_le_i32_e32 vcc, s24, v0
	s_or_b64 s[2:3], vcc, s[2:3]
	s_waitcnt vmcnt(0)
	v_mul_f64 v[14:15], v[3:4], v[12:13]
	v_mul_f64 v[12:13], v[1:2], v[12:13]
	v_fma_f64 v[14:15], v[1:2], v[10:11], -v[14:15]
	v_fma_f64 v[16:17], v[3:4], v[10:11], v[12:13]
	global_load_dwordx4 v[10:13], v[5:6], off offset:-8
	s_waitcnt vmcnt(0)
	v_add_f64 v[10:11], v[10:11], v[14:15]
	v_add_f64 v[12:13], v[16:17], v[12:13]
	global_store_dwordx4 v[5:6], v[10:13], off offset:-8
	v_add_co_u32_e32 v5, vcc, 0x4000, v5
	v_addc_co_u32_e32 v6, vcc, 0, v6, vcc
	s_andn2_b64 exec, exec, s[2:3]
	s_cbranch_execnz .LBB25_3
.LBB25_4:
	s_endpgm
	.section	.rodata,"a",@progbits
	.p2align	6, 0x0
	.amdhsa_kernel _ZL19rocblas_sger_kernelILi1024E19rocblas_complex_numIdES1_PKS1_PS1_EviiT1_lT2_lllS6_lllT3_lmli
		.amdhsa_group_segment_fixed_size 0
		.amdhsa_private_segment_fixed_size 0
		.amdhsa_kernarg_size 132
		.amdhsa_user_sgpr_count 6
		.amdhsa_user_sgpr_private_segment_buffer 1
		.amdhsa_user_sgpr_dispatch_ptr 0
		.amdhsa_user_sgpr_queue_ptr 0
		.amdhsa_user_sgpr_kernarg_segment_ptr 1
		.amdhsa_user_sgpr_dispatch_id 0
		.amdhsa_user_sgpr_flat_scratch_init 0
		.amdhsa_user_sgpr_private_segment_size 0
		.amdhsa_uses_dynamic_stack 0
		.amdhsa_system_sgpr_private_segment_wavefront_offset 0
		.amdhsa_system_sgpr_workgroup_id_x 1
		.amdhsa_system_sgpr_workgroup_id_y 0
		.amdhsa_system_sgpr_workgroup_id_z 1
		.amdhsa_system_sgpr_workgroup_info 0
		.amdhsa_system_vgpr_workitem_id 0
		.amdhsa_next_free_vgpr 18
		.amdhsa_next_free_sgpr 32
		.amdhsa_reserve_vcc 1
		.amdhsa_reserve_flat_scratch 0
		.amdhsa_float_round_mode_32 0
		.amdhsa_float_round_mode_16_64 0
		.amdhsa_float_denorm_mode_32 3
		.amdhsa_float_denorm_mode_16_64 3
		.amdhsa_dx10_clamp 1
		.amdhsa_ieee_mode 1
		.amdhsa_fp16_overflow 0
		.amdhsa_exception_fp_ieee_invalid_op 0
		.amdhsa_exception_fp_denorm_src 0
		.amdhsa_exception_fp_ieee_div_zero 0
		.amdhsa_exception_fp_ieee_overflow 0
		.amdhsa_exception_fp_ieee_underflow 0
		.amdhsa_exception_fp_ieee_inexact 0
		.amdhsa_exception_int_div_zero 0
	.end_amdhsa_kernel
	.section	.text._ZL19rocblas_sger_kernelILi1024E19rocblas_complex_numIdES1_PKS1_PS1_EviiT1_lT2_lllS6_lllT3_lmli,"axG",@progbits,_ZL19rocblas_sger_kernelILi1024E19rocblas_complex_numIdES1_PKS1_PS1_EviiT1_lT2_lllS6_lllT3_lmli,comdat
.Lfunc_end25:
	.size	_ZL19rocblas_sger_kernelILi1024E19rocblas_complex_numIdES1_PKS1_PS1_EviiT1_lT2_lllS6_lllT3_lmli, .Lfunc_end25-_ZL19rocblas_sger_kernelILi1024E19rocblas_complex_numIdES1_PKS1_PS1_EviiT1_lT2_lllS6_lllT3_lmli
                                        ; -- End function
	.set _ZL19rocblas_sger_kernelILi1024E19rocblas_complex_numIdES1_PKS1_PS1_EviiT1_lT2_lllS6_lllT3_lmli.num_vgpr, 18
	.set _ZL19rocblas_sger_kernelILi1024E19rocblas_complex_numIdES1_PKS1_PS1_EviiT1_lT2_lllS6_lllT3_lmli.num_agpr, 0
	.set _ZL19rocblas_sger_kernelILi1024E19rocblas_complex_numIdES1_PKS1_PS1_EviiT1_lT2_lllS6_lllT3_lmli.numbered_sgpr, 32
	.set _ZL19rocblas_sger_kernelILi1024E19rocblas_complex_numIdES1_PKS1_PS1_EviiT1_lT2_lllS6_lllT3_lmli.num_named_barrier, 0
	.set _ZL19rocblas_sger_kernelILi1024E19rocblas_complex_numIdES1_PKS1_PS1_EviiT1_lT2_lllS6_lllT3_lmli.private_seg_size, 0
	.set _ZL19rocblas_sger_kernelILi1024E19rocblas_complex_numIdES1_PKS1_PS1_EviiT1_lT2_lllS6_lllT3_lmli.uses_vcc, 1
	.set _ZL19rocblas_sger_kernelILi1024E19rocblas_complex_numIdES1_PKS1_PS1_EviiT1_lT2_lllS6_lllT3_lmli.uses_flat_scratch, 0
	.set _ZL19rocblas_sger_kernelILi1024E19rocblas_complex_numIdES1_PKS1_PS1_EviiT1_lT2_lllS6_lllT3_lmli.has_dyn_sized_stack, 0
	.set _ZL19rocblas_sger_kernelILi1024E19rocblas_complex_numIdES1_PKS1_PS1_EviiT1_lT2_lllS6_lllT3_lmli.has_recursion, 0
	.set _ZL19rocblas_sger_kernelILi1024E19rocblas_complex_numIdES1_PKS1_PS1_EviiT1_lT2_lllS6_lllT3_lmli.has_indirect_call, 0
	.section	.AMDGPU.csdata,"",@progbits
; Kernel info:
; codeLenInByte = 584
; TotalNumSgprs: 36
; NumVgprs: 18
; ScratchSize: 0
; MemoryBound: 0
; FloatMode: 240
; IeeeMode: 1
; LDSByteSize: 0 bytes/workgroup (compile time only)
; SGPRBlocks: 4
; VGPRBlocks: 4
; NumSGPRsForWavesPerEU: 36
; NumVGPRsForWavesPerEU: 18
; Occupancy: 10
; WaveLimiterHint : 0
; COMPUTE_PGM_RSRC2:SCRATCH_EN: 0
; COMPUTE_PGM_RSRC2:USER_SGPR: 6
; COMPUTE_PGM_RSRC2:TRAP_HANDLER: 0
; COMPUTE_PGM_RSRC2:TGID_X_EN: 1
; COMPUTE_PGM_RSRC2:TGID_Y_EN: 0
; COMPUTE_PGM_RSRC2:TGID_Z_EN: 1
; COMPUTE_PGM_RSRC2:TIDIG_COMP_CNT: 0
	.section	.text._ZL18rocblas_ger_kernelILi32ELi32ELi2ELb0E19rocblas_complex_numIdEPKS1_S3_PS1_EviiT4_lT5_lllS6_lllT6_lmli,"axG",@progbits,_ZL18rocblas_ger_kernelILi32ELi32ELi2ELb0E19rocblas_complex_numIdEPKS1_S3_PS1_EviiT4_lT5_lllS6_lllT6_lmli,comdat
	.globl	_ZL18rocblas_ger_kernelILi32ELi32ELi2ELb0E19rocblas_complex_numIdEPKS1_S3_PS1_EviiT4_lT5_lllS6_lllT6_lmli ; -- Begin function _ZL18rocblas_ger_kernelILi32ELi32ELi2ELb0E19rocblas_complex_numIdEPKS1_S3_PS1_EviiT4_lT5_lllS6_lllT6_lmli
	.p2align	8
	.type	_ZL18rocblas_ger_kernelILi32ELi32ELi2ELb0E19rocblas_complex_numIdEPKS1_S3_PS1_EviiT4_lT5_lllS6_lllT6_lmli,@function
_ZL18rocblas_ger_kernelILi32ELi32ELi2ELb0E19rocblas_complex_numIdEPKS1_S3_PS1_EviiT4_lT5_lllS6_lllT6_lmli: ; @_ZL18rocblas_ger_kernelILi32ELi32ELi2ELb0E19rocblas_complex_numIdEPKS1_S3_PS1_EviiT4_lT5_lllS6_lllT6_lmli
; %bb.0:
	s_load_dwordx2 s[12:13], s[4:5], 0x0
	s_load_dwordx4 s[0:3], s[4:5], 0x8
	s_waitcnt lgkmcnt(0)
	s_add_i32 s8, s12, -1
	s_ashr_i32 s9, s8, 31
	s_lshr_b32 s9, s9, 27
	s_add_i32 s8, s8, s9
	s_ashr_i32 s11, s8, 5
	s_mul_i32 s3, s3, s7
	s_mul_hi_u32 s8, s2, s7
	s_add_i32 s3, s8, s3
	s_mul_i32 s2, s2, s7
	s_add_i32 s10, s11, 1
	s_lshl_b64 s[2:3], s[2:3], 4
	s_add_u32 s8, s0, s2
	s_addc_u32 s9, s1, s3
	s_load_dwordx4 s[0:3], s[8:9], 0x0
	v_cvt_f32_u32_e32 v2, s10
	s_waitcnt lgkmcnt(0)
	v_cmp_neq_f64_e64 s[8:9], s[0:1], 0
	v_cmp_neq_f64_e64 s[14:15], s[2:3], 0
	v_rcp_iflag_f32_e32 v2, v2
	v_mul_f32_e32 v2, 0x4f7ffffe, v2
	v_cvt_u32_f32_e32 v2, v2
	s_or_b64 s[8:9], s[8:9], s[14:15]
	s_andn2_b64 vcc, exec, s[8:9]
	v_readfirstlane_b32 s16, v2
	s_cbranch_vccnz .LBB26_14
; %bb.1:
	s_not_b32 s11, s11
	s_mul_i32 s11, s11, s16
	s_mul_hi_u32 s11, s16, s11
	s_add_i32 s16, s16, s11
	s_mul_hi_u32 s11, s6, s16
	s_mul_i32 s16, s11, s10
	s_sub_i32 s16, s6, s16
	s_add_i32 s17, s11, 1
	s_sub_i32 s18, s16, s10
	s_cmp_ge_u32 s16, s10
	s_cselect_b32 s11, s17, s11
	s_cselect_b32 s16, s18, s16
	s_add_i32 s17, s11, 1
	s_load_dwordx2 s[14:15], s[4:5], 0x58
	s_load_dwordx2 s[8:9], s[4:5], 0x38
	s_cmp_ge_u32 s16, s10
	s_cselect_b32 s18, s17, s11
	s_mul_i32 s10, s18, s10
	s_sub_i32 s6, s6, s10
	v_lshl_add_u32 v6, s6, 5, v0
	v_cmp_eq_u32_e32 vcc, 0, v1
	s_and_saveexec_b64 s[10:11], vcc
	s_cbranch_execz .LBB26_5
; %bb.2:
	v_mov_b32_e32 v2, 0
	v_mov_b32_e32 v4, 0
	;; [unrolled: 1-line block ×4, first 2 shown]
	v_cmp_gt_i32_e32 vcc, s12, v6
	s_and_saveexec_b64 s[16:17], vcc
	s_cbranch_execz .LBB26_4
; %bb.3:
	s_load_dwordx2 s[24:25], s[4:5], 0x30
	s_load_dwordx2 s[26:27], s[4:5], 0x18
	s_load_dwordx4 s[20:23], s[4:5], 0x20
	v_ashrrev_i32_e32 v2, 31, v6
	s_waitcnt lgkmcnt(0)
	s_mul_i32 s6, s25, s7
	s_mul_hi_u32 s19, s24, s7
	v_mul_lo_u32 v4, s23, v6
	v_mul_lo_u32 v5, s22, v2
	v_mad_u64_u32 v[2:3], s[22:23], s22, v6, 0
	s_mul_i32 s24, s24, s7
	s_add_i32 s25, s19, s6
	s_lshl_b64 s[24:25], s[24:25], 4
	s_add_u32 s6, s26, s24
	s_addc_u32 s19, s27, s25
	s_lshl_b64 s[20:21], s[20:21], 4
	v_add3_u32 v3, v3, v5, v4
	s_add_u32 s6, s6, s20
	v_lshlrev_b64 v[2:3], 4, v[2:3]
	s_addc_u32 s19, s19, s21
	v_mov_b32_e32 v4, s19
	v_add_co_u32_e32 v2, vcc, s6, v2
	v_addc_co_u32_e32 v3, vcc, v4, v3, vcc
	global_load_dwordx4 v[2:5], v[2:3], off
.LBB26_4:
	s_or_b64 exec, exec, s[16:17]
	v_lshlrev_b32_e32 v7, 4, v0
	s_waitcnt vmcnt(0)
	ds_write_b128 v7, v[2:5] offset:1024
.LBB26_5:
	s_or_b64 exec, exec, s[10:11]
	v_lshlrev_b32_e32 v7, 1, v1
	v_lshl_add_u32 v5, s18, 6, v7
	v_cmp_gt_u32_e32 vcc, 2, v0
	s_and_saveexec_b64 s[10:11], vcc
	s_cbranch_execz .LBB26_9
; %bb.6:
	v_or_b32_e32 v8, v5, v0
	v_mov_b32_e32 v1, 0
	v_mov_b32_e32 v3, 0
	;; [unrolled: 1-line block ×4, first 2 shown]
	v_cmp_gt_u32_e32 vcc, s13, v8
	s_and_saveexec_b64 s[16:17], vcc
	s_cbranch_execz .LBB26_8
; %bb.7:
	s_load_dwordx2 s[18:19], s[4:5], 0x50
	s_load_dwordx4 s[20:23], s[4:5], 0x40
	s_waitcnt lgkmcnt(0)
	s_mul_i32 s6, s19, s7
	s_mul_hi_u32 s19, s18, s7
	v_mad_u64_u32 v[1:2], s[24:25], s22, v8, 0
	s_mul_i32 s18, s18, s7
	s_add_i32 s19, s19, s6
	s_lshl_b64 s[18:19], s[18:19], 4
	s_add_u32 s6, s8, s18
	s_addc_u32 s18, s9, s19
	v_mad_u64_u32 v[2:3], s[8:9], s23, v8, v[2:3]
	s_lshl_b64 s[8:9], s[20:21], 4
	s_add_u32 s6, s6, s8
	v_lshlrev_b64 v[1:2], 4, v[1:2]
	s_addc_u32 s8, s18, s9
	v_mov_b32_e32 v3, s8
	v_add_co_u32_e32 v1, vcc, s6, v1
	v_addc_co_u32_e32 v2, vcc, v3, v2, vcc
	global_load_dwordx4 v[1:4], v[1:2], off
.LBB26_8:
	s_or_b64 exec, exec, s[16:17]
	v_lshlrev_b32_e32 v8, 4, v0
	v_lshl_add_u32 v8, v7, 4, v8
	s_waitcnt vmcnt(0)
	ds_write_b128 v8, v[1:4]
.LBB26_9:
	s_or_b64 exec, exec, s[10:11]
	v_cmp_gt_i32_e32 vcc, s12, v6
	s_waitcnt lgkmcnt(0)
	s_barrier
	s_and_saveexec_b64 s[8:9], vcc
	s_cbranch_execz .LBB26_14
; %bb.10:
	v_lshlrev_b32_e32 v0, 4, v0
	s_load_dwordx2 s[16:17], s[4:5], 0x70
	s_load_dwordx4 s[8:11], s[4:5], 0x60
	ds_read_b128 v[8:11], v0 offset:1024
	v_lshlrev_b32_e32 v4, 4, v7
	v_ashrrev_i32_e32 v7, 31, v6
	s_waitcnt lgkmcnt(0)
	s_mul_i32 s4, s17, s7
	s_mul_hi_u32 s5, s16, s7
	v_mul_f64 v[0:1], s[2:3], v[10:11]
	v_mul_f64 v[2:3], s[0:1], v[10:11]
	s_add_i32 s5, s5, s4
	s_mul_i32 s4, s16, s7
	s_lshl_b64 s[4:5], s[4:5], 4
	s_add_u32 s6, s14, s4
	s_addc_u32 s7, s15, s5
	s_lshl_b64 s[4:5], s[8:9], 4
	v_fma_f64 v[0:1], s[0:1], v[8:9], -v[0:1]
	v_fma_f64 v[2:3], s[2:3], v[8:9], v[2:3]
	s_add_u32 s4, s6, s4
	v_lshlrev_b64 v[6:7], 4, v[6:7]
	s_addc_u32 s5, s7, s5
	v_mov_b32_e32 v8, s5
	v_add_co_u32_e32 v6, vcc, s4, v6
	v_addc_co_u32_e32 v7, vcc, v8, v7, vcc
	v_cmp_gt_i32_e32 vcc, s13, v5
	s_and_saveexec_b64 s[0:1], vcc
	s_cbranch_execz .LBB26_12
; %bb.11:
	ds_read_b128 v[8:11], v4
	v_ashrrev_i32_e32 v16, 31, v5
	v_mul_lo_u32 v17, s11, v5
	v_mad_u64_u32 v[12:13], s[2:3], s10, v5, 0
	v_mul_lo_u32 v16, s10, v16
	s_waitcnt lgkmcnt(0)
	v_mul_f64 v[14:15], v[2:3], v[10:11]
	v_mul_f64 v[10:11], v[0:1], v[10:11]
	v_add3_u32 v13, v13, v16, v17
	v_lshlrev_b64 v[12:13], 4, v[12:13]
	v_add_co_u32_e32 v12, vcc, v6, v12
	v_addc_co_u32_e32 v13, vcc, v7, v13, vcc
	v_fma_f64 v[14:15], v[0:1], v[8:9], -v[14:15]
	v_fma_f64 v[16:17], v[2:3], v[8:9], v[10:11]
	global_load_dwordx4 v[8:11], v[12:13], off
	s_waitcnt vmcnt(0)
	v_add_f64 v[8:9], v[8:9], v[14:15]
	v_add_f64 v[10:11], v[16:17], v[10:11]
	global_store_dwordx4 v[12:13], v[8:11], off
.LBB26_12:
	s_or_b64 exec, exec, s[0:1]
	v_or_b32_e32 v5, 1, v5
	v_cmp_gt_i32_e32 vcc, s13, v5
	s_and_b64 exec, exec, vcc
	s_cbranch_execz .LBB26_14
; %bb.13:
	v_ashrrev_i32_e32 v10, 31, v5
	v_mul_lo_u32 v11, s11, v5
	v_mad_u64_u32 v[8:9], s[0:1], s10, v5, 0
	v_mul_lo_u32 v5, s10, v10
	v_add3_u32 v9, v9, v5, v11
	v_lshlrev_b64 v[8:9], 4, v[8:9]
	v_add_co_u32_e32 v13, vcc, v6, v8
	v_addc_co_u32_e32 v14, vcc, v7, v9, vcc
	global_load_dwordx4 v[5:8], v[13:14], off
	ds_read_b128 v[9:12], v4 offset:16
	s_waitcnt lgkmcnt(0)
	v_mul_f64 v[15:16], v[2:3], v[11:12]
	v_mul_f64 v[11:12], v[0:1], v[11:12]
	v_fma_f64 v[0:1], v[0:1], v[9:10], -v[15:16]
	v_fma_f64 v[2:3], v[2:3], v[9:10], v[11:12]
	s_waitcnt vmcnt(0)
	v_add_f64 v[0:1], v[5:6], v[0:1]
	v_add_f64 v[2:3], v[2:3], v[7:8]
	global_store_dwordx4 v[13:14], v[0:3], off
.LBB26_14:
	s_endpgm
	.section	.rodata,"a",@progbits
	.p2align	6, 0x0
	.amdhsa_kernel _ZL18rocblas_ger_kernelILi32ELi32ELi2ELb0E19rocblas_complex_numIdEPKS1_S3_PS1_EviiT4_lT5_lllS6_lllT6_lmli
		.amdhsa_group_segment_fixed_size 1536
		.amdhsa_private_segment_fixed_size 0
		.amdhsa_kernarg_size 124
		.amdhsa_user_sgpr_count 6
		.amdhsa_user_sgpr_private_segment_buffer 1
		.amdhsa_user_sgpr_dispatch_ptr 0
		.amdhsa_user_sgpr_queue_ptr 0
		.amdhsa_user_sgpr_kernarg_segment_ptr 1
		.amdhsa_user_sgpr_dispatch_id 0
		.amdhsa_user_sgpr_flat_scratch_init 0
		.amdhsa_user_sgpr_private_segment_size 0
		.amdhsa_uses_dynamic_stack 0
		.amdhsa_system_sgpr_private_segment_wavefront_offset 0
		.amdhsa_system_sgpr_workgroup_id_x 1
		.amdhsa_system_sgpr_workgroup_id_y 0
		.amdhsa_system_sgpr_workgroup_id_z 1
		.amdhsa_system_sgpr_workgroup_info 0
		.amdhsa_system_vgpr_workitem_id 1
		.amdhsa_next_free_vgpr 18
		.amdhsa_next_free_sgpr 28
		.amdhsa_reserve_vcc 1
		.amdhsa_reserve_flat_scratch 0
		.amdhsa_float_round_mode_32 0
		.amdhsa_float_round_mode_16_64 0
		.amdhsa_float_denorm_mode_32 3
		.amdhsa_float_denorm_mode_16_64 3
		.amdhsa_dx10_clamp 1
		.amdhsa_ieee_mode 1
		.amdhsa_fp16_overflow 0
		.amdhsa_exception_fp_ieee_invalid_op 0
		.amdhsa_exception_fp_denorm_src 0
		.amdhsa_exception_fp_ieee_div_zero 0
		.amdhsa_exception_fp_ieee_overflow 0
		.amdhsa_exception_fp_ieee_underflow 0
		.amdhsa_exception_fp_ieee_inexact 0
		.amdhsa_exception_int_div_zero 0
	.end_amdhsa_kernel
	.section	.text._ZL18rocblas_ger_kernelILi32ELi32ELi2ELb0E19rocblas_complex_numIdEPKS1_S3_PS1_EviiT4_lT5_lllS6_lllT6_lmli,"axG",@progbits,_ZL18rocblas_ger_kernelILi32ELi32ELi2ELb0E19rocblas_complex_numIdEPKS1_S3_PS1_EviiT4_lT5_lllS6_lllT6_lmli,comdat
.Lfunc_end26:
	.size	_ZL18rocblas_ger_kernelILi32ELi32ELi2ELb0E19rocblas_complex_numIdEPKS1_S3_PS1_EviiT4_lT5_lllS6_lllT6_lmli, .Lfunc_end26-_ZL18rocblas_ger_kernelILi32ELi32ELi2ELb0E19rocblas_complex_numIdEPKS1_S3_PS1_EviiT4_lT5_lllS6_lllT6_lmli
                                        ; -- End function
	.set _ZL18rocblas_ger_kernelILi32ELi32ELi2ELb0E19rocblas_complex_numIdEPKS1_S3_PS1_EviiT4_lT5_lllS6_lllT6_lmli.num_vgpr, 18
	.set _ZL18rocblas_ger_kernelILi32ELi32ELi2ELb0E19rocblas_complex_numIdEPKS1_S3_PS1_EviiT4_lT5_lllS6_lllT6_lmli.num_agpr, 0
	.set _ZL18rocblas_ger_kernelILi32ELi32ELi2ELb0E19rocblas_complex_numIdEPKS1_S3_PS1_EviiT4_lT5_lllS6_lllT6_lmli.numbered_sgpr, 28
	.set _ZL18rocblas_ger_kernelILi32ELi32ELi2ELb0E19rocblas_complex_numIdEPKS1_S3_PS1_EviiT4_lT5_lllS6_lllT6_lmli.num_named_barrier, 0
	.set _ZL18rocblas_ger_kernelILi32ELi32ELi2ELb0E19rocblas_complex_numIdEPKS1_S3_PS1_EviiT4_lT5_lllS6_lllT6_lmli.private_seg_size, 0
	.set _ZL18rocblas_ger_kernelILi32ELi32ELi2ELb0E19rocblas_complex_numIdEPKS1_S3_PS1_EviiT4_lT5_lllS6_lllT6_lmli.uses_vcc, 1
	.set _ZL18rocblas_ger_kernelILi32ELi32ELi2ELb0E19rocblas_complex_numIdEPKS1_S3_PS1_EviiT4_lT5_lllS6_lllT6_lmli.uses_flat_scratch, 0
	.set _ZL18rocblas_ger_kernelILi32ELi32ELi2ELb0E19rocblas_complex_numIdEPKS1_S3_PS1_EviiT4_lT5_lllS6_lllT6_lmli.has_dyn_sized_stack, 0
	.set _ZL18rocblas_ger_kernelILi32ELi32ELi2ELb0E19rocblas_complex_numIdEPKS1_S3_PS1_EviiT4_lT5_lllS6_lllT6_lmli.has_recursion, 0
	.set _ZL18rocblas_ger_kernelILi32ELi32ELi2ELb0E19rocblas_complex_numIdEPKS1_S3_PS1_EviiT4_lT5_lllS6_lllT6_lmli.has_indirect_call, 0
	.section	.AMDGPU.csdata,"",@progbits
; Kernel info:
; codeLenInByte = 1068
; TotalNumSgprs: 32
; NumVgprs: 18
; ScratchSize: 0
; MemoryBound: 0
; FloatMode: 240
; IeeeMode: 1
; LDSByteSize: 1536 bytes/workgroup (compile time only)
; SGPRBlocks: 3
; VGPRBlocks: 4
; NumSGPRsForWavesPerEU: 32
; NumVGPRsForWavesPerEU: 18
; Occupancy: 10
; WaveLimiterHint : 0
; COMPUTE_PGM_RSRC2:SCRATCH_EN: 0
; COMPUTE_PGM_RSRC2:USER_SGPR: 6
; COMPUTE_PGM_RSRC2:TRAP_HANDLER: 0
; COMPUTE_PGM_RSRC2:TGID_X_EN: 1
; COMPUTE_PGM_RSRC2:TGID_Y_EN: 0
; COMPUTE_PGM_RSRC2:TGID_Z_EN: 1
; COMPUTE_PGM_RSRC2:TIDIG_COMP_CNT: 1
	.section	.text._ZL18rocblas_ger_kernelILi32ELi32ELi2ELb0E19rocblas_complex_numIdES1_PKS1_PS1_EviiT4_lT5_lllS6_lllT6_lmli,"axG",@progbits,_ZL18rocblas_ger_kernelILi32ELi32ELi2ELb0E19rocblas_complex_numIdES1_PKS1_PS1_EviiT4_lT5_lllS6_lllT6_lmli,comdat
	.globl	_ZL18rocblas_ger_kernelILi32ELi32ELi2ELb0E19rocblas_complex_numIdES1_PKS1_PS1_EviiT4_lT5_lllS6_lllT6_lmli ; -- Begin function _ZL18rocblas_ger_kernelILi32ELi32ELi2ELb0E19rocblas_complex_numIdES1_PKS1_PS1_EviiT4_lT5_lllS6_lllT6_lmli
	.p2align	8
	.type	_ZL18rocblas_ger_kernelILi32ELi32ELi2ELb0E19rocblas_complex_numIdES1_PKS1_PS1_EviiT4_lT5_lllS6_lllT6_lmli,@function
_ZL18rocblas_ger_kernelILi32ELi32ELi2ELb0E19rocblas_complex_numIdES1_PKS1_PS1_EviiT4_lT5_lllS6_lllT6_lmli: ; @_ZL18rocblas_ger_kernelILi32ELi32ELi2ELb0E19rocblas_complex_numIdES1_PKS1_PS1_EviiT4_lT5_lllS6_lllT6_lmli
; %bb.0:
	s_load_dwordx2 s[12:13], s[4:5], 0x0
	s_load_dwordx4 s[0:3], s[4:5], 0x8
	s_waitcnt lgkmcnt(0)
	s_add_i32 s8, s12, -1
	s_ashr_i32 s9, s8, 31
	s_lshr_b32 s9, s9, 27
	s_add_i32 s8, s8, s9
	s_ashr_i32 s11, s8, 5
	s_add_i32 s10, s11, 1
	v_cvt_f32_u32_e32 v2, s10
	v_cmp_neq_f64_e64 s[8:9], s[0:1], 0
	v_cmp_neq_f64_e64 s[14:15], s[2:3], 0
	v_rcp_iflag_f32_e32 v2, v2
	v_mul_f32_e32 v2, 0x4f7ffffe, v2
	v_cvt_u32_f32_e32 v2, v2
	s_or_b64 s[8:9], s[8:9], s[14:15]
	s_andn2_b64 vcc, exec, s[8:9]
	v_readfirstlane_b32 s16, v2
	s_cbranch_vccnz .LBB27_14
; %bb.1:
	s_not_b32 s11, s11
	s_mul_i32 s11, s11, s16
	s_mul_hi_u32 s11, s16, s11
	s_add_i32 s16, s16, s11
	s_mul_hi_u32 s11, s6, s16
	s_mul_i32 s16, s11, s10
	s_sub_i32 s16, s6, s16
	s_add_i32 s17, s11, 1
	s_sub_i32 s18, s16, s10
	s_cmp_ge_u32 s16, s10
	s_cselect_b32 s11, s17, s11
	s_cselect_b32 s16, s18, s16
	s_add_i32 s17, s11, 1
	s_load_dwordx2 s[14:15], s[4:5], 0x60
	s_load_dwordx2 s[8:9], s[4:5], 0x40
	s_cmp_ge_u32 s16, s10
	s_cselect_b32 s18, s17, s11
	s_mul_i32 s10, s18, s10
	s_sub_i32 s6, s6, s10
	v_lshl_add_u32 v6, s6, 5, v0
	v_cmp_eq_u32_e32 vcc, 0, v1
	s_and_saveexec_b64 s[10:11], vcc
	s_cbranch_execz .LBB27_5
; %bb.2:
	v_mov_b32_e32 v2, 0
	v_mov_b32_e32 v4, 0
	;; [unrolled: 1-line block ×4, first 2 shown]
	v_cmp_gt_i32_e32 vcc, s12, v6
	s_and_saveexec_b64 s[16:17], vcc
	s_cbranch_execz .LBB27_4
; %bb.3:
	s_load_dwordx2 s[24:25], s[4:5], 0x38
	s_load_dwordx2 s[26:27], s[4:5], 0x20
	s_load_dwordx4 s[20:23], s[4:5], 0x28
	v_ashrrev_i32_e32 v2, 31, v6
	s_waitcnt lgkmcnt(0)
	s_mul_i32 s6, s25, s7
	s_mul_hi_u32 s19, s24, s7
	v_mul_lo_u32 v4, s23, v6
	v_mul_lo_u32 v5, s22, v2
	v_mad_u64_u32 v[2:3], s[22:23], s22, v6, 0
	s_mul_i32 s24, s24, s7
	s_add_i32 s25, s19, s6
	s_lshl_b64 s[24:25], s[24:25], 4
	s_add_u32 s6, s26, s24
	s_addc_u32 s19, s27, s25
	s_lshl_b64 s[20:21], s[20:21], 4
	v_add3_u32 v3, v3, v5, v4
	s_add_u32 s6, s6, s20
	v_lshlrev_b64 v[2:3], 4, v[2:3]
	s_addc_u32 s19, s19, s21
	v_mov_b32_e32 v4, s19
	v_add_co_u32_e32 v2, vcc, s6, v2
	v_addc_co_u32_e32 v3, vcc, v4, v3, vcc
	global_load_dwordx4 v[2:5], v[2:3], off
.LBB27_4:
	s_or_b64 exec, exec, s[16:17]
	v_lshlrev_b32_e32 v7, 4, v0
	s_waitcnt vmcnt(0)
	ds_write_b128 v7, v[2:5] offset:1024
.LBB27_5:
	s_or_b64 exec, exec, s[10:11]
	v_lshlrev_b32_e32 v7, 1, v1
	v_lshl_add_u32 v5, s18, 6, v7
	v_cmp_gt_u32_e32 vcc, 2, v0
	s_and_saveexec_b64 s[10:11], vcc
	s_cbranch_execz .LBB27_9
; %bb.6:
	v_or_b32_e32 v8, v5, v0
	v_mov_b32_e32 v1, 0
	v_mov_b32_e32 v3, 0
	v_mov_b32_e32 v2, 0
	v_mov_b32_e32 v4, 0
	v_cmp_gt_u32_e32 vcc, s13, v8
	s_and_saveexec_b64 s[16:17], vcc
	s_cbranch_execz .LBB27_8
; %bb.7:
	s_load_dwordx2 s[18:19], s[4:5], 0x58
	s_load_dwordx4 s[20:23], s[4:5], 0x48
	s_waitcnt lgkmcnt(0)
	s_mul_i32 s6, s19, s7
	s_mul_hi_u32 s19, s18, s7
	v_mad_u64_u32 v[1:2], s[24:25], s22, v8, 0
	s_mul_i32 s18, s18, s7
	s_add_i32 s19, s19, s6
	s_lshl_b64 s[18:19], s[18:19], 4
	s_add_u32 s6, s8, s18
	s_addc_u32 s18, s9, s19
	v_mad_u64_u32 v[2:3], s[8:9], s23, v8, v[2:3]
	s_lshl_b64 s[8:9], s[20:21], 4
	s_add_u32 s6, s6, s8
	v_lshlrev_b64 v[1:2], 4, v[1:2]
	s_addc_u32 s8, s18, s9
	v_mov_b32_e32 v3, s8
	v_add_co_u32_e32 v1, vcc, s6, v1
	v_addc_co_u32_e32 v2, vcc, v3, v2, vcc
	global_load_dwordx4 v[1:4], v[1:2], off
.LBB27_8:
	s_or_b64 exec, exec, s[16:17]
	v_lshlrev_b32_e32 v8, 4, v0
	v_lshl_add_u32 v8, v7, 4, v8
	s_waitcnt vmcnt(0)
	ds_write_b128 v8, v[1:4]
.LBB27_9:
	s_or_b64 exec, exec, s[10:11]
	v_cmp_gt_i32_e32 vcc, s12, v6
	s_waitcnt lgkmcnt(0)
	s_barrier
	s_and_saveexec_b64 s[8:9], vcc
	s_cbranch_execz .LBB27_14
; %bb.10:
	v_lshlrev_b32_e32 v0, 4, v0
	s_load_dwordx2 s[16:17], s[4:5], 0x78
	s_load_dwordx4 s[8:11], s[4:5], 0x68
	ds_read_b128 v[8:11], v0 offset:1024
	v_lshlrev_b32_e32 v4, 4, v7
	v_ashrrev_i32_e32 v7, 31, v6
	s_waitcnt lgkmcnt(0)
	s_mul_i32 s4, s17, s7
	s_mul_hi_u32 s5, s16, s7
	v_mul_f64 v[0:1], s[2:3], v[10:11]
	v_mul_f64 v[2:3], s[0:1], v[10:11]
	s_add_i32 s5, s5, s4
	s_mul_i32 s4, s16, s7
	s_lshl_b64 s[4:5], s[4:5], 4
	s_add_u32 s6, s14, s4
	s_addc_u32 s7, s15, s5
	s_lshl_b64 s[4:5], s[8:9], 4
	v_fma_f64 v[0:1], s[0:1], v[8:9], -v[0:1]
	v_fma_f64 v[2:3], s[2:3], v[8:9], v[2:3]
	s_add_u32 s4, s6, s4
	v_lshlrev_b64 v[6:7], 4, v[6:7]
	s_addc_u32 s5, s7, s5
	v_mov_b32_e32 v8, s5
	v_add_co_u32_e32 v6, vcc, s4, v6
	v_addc_co_u32_e32 v7, vcc, v8, v7, vcc
	v_cmp_gt_i32_e32 vcc, s13, v5
	s_and_saveexec_b64 s[0:1], vcc
	s_cbranch_execz .LBB27_12
; %bb.11:
	ds_read_b128 v[8:11], v4
	v_ashrrev_i32_e32 v16, 31, v5
	v_mul_lo_u32 v17, s11, v5
	v_mad_u64_u32 v[12:13], s[2:3], s10, v5, 0
	v_mul_lo_u32 v16, s10, v16
	s_waitcnt lgkmcnt(0)
	v_mul_f64 v[14:15], v[2:3], v[10:11]
	v_mul_f64 v[10:11], v[0:1], v[10:11]
	v_add3_u32 v13, v13, v16, v17
	v_lshlrev_b64 v[12:13], 4, v[12:13]
	v_add_co_u32_e32 v12, vcc, v6, v12
	v_addc_co_u32_e32 v13, vcc, v7, v13, vcc
	v_fma_f64 v[14:15], v[0:1], v[8:9], -v[14:15]
	v_fma_f64 v[16:17], v[2:3], v[8:9], v[10:11]
	global_load_dwordx4 v[8:11], v[12:13], off
	s_waitcnt vmcnt(0)
	v_add_f64 v[8:9], v[8:9], v[14:15]
	v_add_f64 v[10:11], v[16:17], v[10:11]
	global_store_dwordx4 v[12:13], v[8:11], off
.LBB27_12:
	s_or_b64 exec, exec, s[0:1]
	v_or_b32_e32 v5, 1, v5
	v_cmp_gt_i32_e32 vcc, s13, v5
	s_and_b64 exec, exec, vcc
	s_cbranch_execz .LBB27_14
; %bb.13:
	v_ashrrev_i32_e32 v10, 31, v5
	v_mul_lo_u32 v11, s11, v5
	v_mad_u64_u32 v[8:9], s[0:1], s10, v5, 0
	v_mul_lo_u32 v5, s10, v10
	v_add3_u32 v9, v9, v5, v11
	v_lshlrev_b64 v[8:9], 4, v[8:9]
	v_add_co_u32_e32 v13, vcc, v6, v8
	v_addc_co_u32_e32 v14, vcc, v7, v9, vcc
	global_load_dwordx4 v[5:8], v[13:14], off
	ds_read_b128 v[9:12], v4 offset:16
	s_waitcnt lgkmcnt(0)
	v_mul_f64 v[15:16], v[2:3], v[11:12]
	v_mul_f64 v[11:12], v[0:1], v[11:12]
	v_fma_f64 v[0:1], v[0:1], v[9:10], -v[15:16]
	v_fma_f64 v[2:3], v[2:3], v[9:10], v[11:12]
	s_waitcnt vmcnt(0)
	v_add_f64 v[0:1], v[5:6], v[0:1]
	v_add_f64 v[2:3], v[2:3], v[7:8]
	global_store_dwordx4 v[13:14], v[0:3], off
.LBB27_14:
	s_endpgm
	.section	.rodata,"a",@progbits
	.p2align	6, 0x0
	.amdhsa_kernel _ZL18rocblas_ger_kernelILi32ELi32ELi2ELb0E19rocblas_complex_numIdES1_PKS1_PS1_EviiT4_lT5_lllS6_lllT6_lmli
		.amdhsa_group_segment_fixed_size 1536
		.amdhsa_private_segment_fixed_size 0
		.amdhsa_kernarg_size 132
		.amdhsa_user_sgpr_count 6
		.amdhsa_user_sgpr_private_segment_buffer 1
		.amdhsa_user_sgpr_dispatch_ptr 0
		.amdhsa_user_sgpr_queue_ptr 0
		.amdhsa_user_sgpr_kernarg_segment_ptr 1
		.amdhsa_user_sgpr_dispatch_id 0
		.amdhsa_user_sgpr_flat_scratch_init 0
		.amdhsa_user_sgpr_private_segment_size 0
		.amdhsa_uses_dynamic_stack 0
		.amdhsa_system_sgpr_private_segment_wavefront_offset 0
		.amdhsa_system_sgpr_workgroup_id_x 1
		.amdhsa_system_sgpr_workgroup_id_y 0
		.amdhsa_system_sgpr_workgroup_id_z 1
		.amdhsa_system_sgpr_workgroup_info 0
		.amdhsa_system_vgpr_workitem_id 1
		.amdhsa_next_free_vgpr 18
		.amdhsa_next_free_sgpr 28
		.amdhsa_reserve_vcc 1
		.amdhsa_reserve_flat_scratch 0
		.amdhsa_float_round_mode_32 0
		.amdhsa_float_round_mode_16_64 0
		.amdhsa_float_denorm_mode_32 3
		.amdhsa_float_denorm_mode_16_64 3
		.amdhsa_dx10_clamp 1
		.amdhsa_ieee_mode 1
		.amdhsa_fp16_overflow 0
		.amdhsa_exception_fp_ieee_invalid_op 0
		.amdhsa_exception_fp_denorm_src 0
		.amdhsa_exception_fp_ieee_div_zero 0
		.amdhsa_exception_fp_ieee_overflow 0
		.amdhsa_exception_fp_ieee_underflow 0
		.amdhsa_exception_fp_ieee_inexact 0
		.amdhsa_exception_int_div_zero 0
	.end_amdhsa_kernel
	.section	.text._ZL18rocblas_ger_kernelILi32ELi32ELi2ELb0E19rocblas_complex_numIdES1_PKS1_PS1_EviiT4_lT5_lllS6_lllT6_lmli,"axG",@progbits,_ZL18rocblas_ger_kernelILi32ELi32ELi2ELb0E19rocblas_complex_numIdES1_PKS1_PS1_EviiT4_lT5_lllS6_lllT6_lmli,comdat
.Lfunc_end27:
	.size	_ZL18rocblas_ger_kernelILi32ELi32ELi2ELb0E19rocblas_complex_numIdES1_PKS1_PS1_EviiT4_lT5_lllS6_lllT6_lmli, .Lfunc_end27-_ZL18rocblas_ger_kernelILi32ELi32ELi2ELb0E19rocblas_complex_numIdES1_PKS1_PS1_EviiT4_lT5_lllS6_lllT6_lmli
                                        ; -- End function
	.set _ZL18rocblas_ger_kernelILi32ELi32ELi2ELb0E19rocblas_complex_numIdES1_PKS1_PS1_EviiT4_lT5_lllS6_lllT6_lmli.num_vgpr, 18
	.set _ZL18rocblas_ger_kernelILi32ELi32ELi2ELb0E19rocblas_complex_numIdES1_PKS1_PS1_EviiT4_lT5_lllS6_lllT6_lmli.num_agpr, 0
	.set _ZL18rocblas_ger_kernelILi32ELi32ELi2ELb0E19rocblas_complex_numIdES1_PKS1_PS1_EviiT4_lT5_lllS6_lllT6_lmli.numbered_sgpr, 28
	.set _ZL18rocblas_ger_kernelILi32ELi32ELi2ELb0E19rocblas_complex_numIdES1_PKS1_PS1_EviiT4_lT5_lllS6_lllT6_lmli.num_named_barrier, 0
	.set _ZL18rocblas_ger_kernelILi32ELi32ELi2ELb0E19rocblas_complex_numIdES1_PKS1_PS1_EviiT4_lT5_lllS6_lllT6_lmli.private_seg_size, 0
	.set _ZL18rocblas_ger_kernelILi32ELi32ELi2ELb0E19rocblas_complex_numIdES1_PKS1_PS1_EviiT4_lT5_lllS6_lllT6_lmli.uses_vcc, 1
	.set _ZL18rocblas_ger_kernelILi32ELi32ELi2ELb0E19rocblas_complex_numIdES1_PKS1_PS1_EviiT4_lT5_lllS6_lllT6_lmli.uses_flat_scratch, 0
	.set _ZL18rocblas_ger_kernelILi32ELi32ELi2ELb0E19rocblas_complex_numIdES1_PKS1_PS1_EviiT4_lT5_lllS6_lllT6_lmli.has_dyn_sized_stack, 0
	.set _ZL18rocblas_ger_kernelILi32ELi32ELi2ELb0E19rocblas_complex_numIdES1_PKS1_PS1_EviiT4_lT5_lllS6_lllT6_lmli.has_recursion, 0
	.set _ZL18rocblas_ger_kernelILi32ELi32ELi2ELb0E19rocblas_complex_numIdES1_PKS1_PS1_EviiT4_lT5_lllS6_lllT6_lmli.has_indirect_call, 0
	.section	.AMDGPU.csdata,"",@progbits
; Kernel info:
; codeLenInByte = 1028
; TotalNumSgprs: 32
; NumVgprs: 18
; ScratchSize: 0
; MemoryBound: 0
; FloatMode: 240
; IeeeMode: 1
; LDSByteSize: 1536 bytes/workgroup (compile time only)
; SGPRBlocks: 3
; VGPRBlocks: 4
; NumSGPRsForWavesPerEU: 32
; NumVGPRsForWavesPerEU: 18
; Occupancy: 10
; WaveLimiterHint : 0
; COMPUTE_PGM_RSRC2:SCRATCH_EN: 0
; COMPUTE_PGM_RSRC2:USER_SGPR: 6
; COMPUTE_PGM_RSRC2:TRAP_HANDLER: 0
; COMPUTE_PGM_RSRC2:TGID_X_EN: 1
; COMPUTE_PGM_RSRC2:TGID_Y_EN: 0
; COMPUTE_PGM_RSRC2:TGID_Z_EN: 1
; COMPUTE_PGM_RSRC2:TIDIG_COMP_CNT: 1
	.section	.text._ZL34rocblas_ger_double_buffered_kernelILb1ELi64ELi16ELi2E19rocblas_complex_numIfE24rocblas_internal_val_ptrIS1_EPKS1_PS1_EvbiiT4_lT5_lllS8_lllT6_lmli,"axG",@progbits,_ZL34rocblas_ger_double_buffered_kernelILb1ELi64ELi16ELi2E19rocblas_complex_numIfE24rocblas_internal_val_ptrIS1_EPKS1_PS1_EvbiiT4_lT5_lllS8_lllT6_lmli,comdat
	.globl	_ZL34rocblas_ger_double_buffered_kernelILb1ELi64ELi16ELi2E19rocblas_complex_numIfE24rocblas_internal_val_ptrIS1_EPKS1_PS1_EvbiiT4_lT5_lllS8_lllT6_lmli ; -- Begin function _ZL34rocblas_ger_double_buffered_kernelILb1ELi64ELi16ELi2E19rocblas_complex_numIfE24rocblas_internal_val_ptrIS1_EPKS1_PS1_EvbiiT4_lT5_lllS8_lllT6_lmli
	.p2align	8
	.type	_ZL34rocblas_ger_double_buffered_kernelILb1ELi64ELi16ELi2E19rocblas_complex_numIfE24rocblas_internal_val_ptrIS1_EPKS1_PS1_EvbiiT4_lT5_lllS8_lllT6_lmli,@function
_ZL34rocblas_ger_double_buffered_kernelILb1ELi64ELi16ELi2E19rocblas_complex_numIfE24rocblas_internal_val_ptrIS1_EPKS1_PS1_EvbiiT4_lT5_lllS8_lllT6_lmli: ; @_ZL34rocblas_ger_double_buffered_kernelILb1ELi64ELi16ELi2E19rocblas_complex_numIfE24rocblas_internal_val_ptrIS1_EPKS1_PS1_EvbiiT4_lT5_lllS8_lllT6_lmli
; %bb.0:
	s_load_dword s9, s[4:5], 0x0
	s_load_dwordx4 s[0:3], s[4:5], 0x10
	s_waitcnt lgkmcnt(0)
	s_bitcmp0_b32 s9, 0
	s_cbranch_scc0 .LBB28_2
; %bb.1:
	s_mul_i32 s3, s3, s8
	s_mul_hi_u32 s9, s2, s8
	s_add_i32 s3, s9, s3
	s_mul_i32 s2, s2, s8
	s_lshl_b64 s[2:3], s[2:3], 3
	s_add_u32 s2, s0, s2
	s_addc_u32 s3, s1, s3
	s_load_dwordx2 s[10:11], s[2:3], 0x0
	s_cbranch_execz .LBB28_3
	s_branch .LBB28_4
.LBB28_2:
                                        ; implicit-def: $sgpr10
.LBB28_3:
	s_waitcnt lgkmcnt(0)
	s_mov_b32 s11, s1
	s_mov_b32 s10, s0
.LBB28_4:
	s_waitcnt lgkmcnt(0)
	v_cmp_neq_f32_e64 s[0:1], s10, 0
	v_cmp_neq_f32_e64 s[2:3], s11, 0
	s_or_b64 s[0:1], s[0:1], s[2:3]
	s_andn2_b64 vcc, exec, s[0:1]
	s_cbranch_vccnz .LBB28_6
; %bb.5:
	s_load_dwordx8 s[20:27], s[4:5], 0x58
	s_load_dwordx8 s[12:19], s[4:5], 0x38
	s_load_dwordx2 s[28:29], s[4:5], 0x78
	s_load_dwordx2 s[30:31], s[4:5], 0x20
	s_load_dwordx4 s[0:3], s[4:5], 0x28
	v_lshl_add_u32 v1, v1, 6, v0
	v_lshrrev_b32_e32 v10, 4, v1
	s_waitcnt lgkmcnt(0)
	s_mul_i32 s4, s29, s8
	s_mul_hi_u32 s5, s28, s8
	s_add_i32 s5, s5, s4
	s_mul_i32 s4, s28, s8
	s_lshl_b64 s[4:5], s[4:5], 3
	s_add_u32 s9, s22, s4
	s_addc_u32 s22, s23, s5
	s_lshl_b64 s[4:5], s[24:25], 3
	s_add_u32 s9, s9, s4
	s_addc_u32 s22, s22, s5
	s_mul_i32 s4, s21, s8
	s_mul_hi_u32 s5, s20, s8
	s_add_i32 s5, s5, s4
	s_mul_i32 s4, s20, s8
	s_lshl_b64 s[4:5], s[4:5], 3
	s_add_u32 s14, s14, s4
	s_addc_u32 s15, s15, s5
	s_lshl_b64 s[4:5], s[16:17], 3
	s_add_u32 s14, s14, s4
	s_addc_u32 s15, s15, s5
	;; [unrolled: 10-line block ×3, first 2 shown]
	s_lshl_b32 s0, s6, 6
	s_ashr_i32 s1, s0, 31
	s_lshl_b64 s[4:5], s[0:1], 3
	s_add_u32 s6, s9, s4
	s_addc_u32 s9, s22, s5
	s_lshl_b32 s7, s7, 6
	s_ashr_i32 s13, s7, 31
	s_mul_i32 s4, s26, s13
	s_mul_hi_u32 s5, s26, s7
	s_add_i32 s4, s5, s4
	s_mul_i32 s5, s27, s7
	s_add_i32 s5, s4, s5
	s_mul_i32 s4, s26, s7
	s_lshl_b64 s[4:5], s[4:5], 3
	s_add_u32 s4, s6, s4
	s_mul_i32 s1, s2, s1
	s_mul_hi_u32 s6, s2, s0
	s_addc_u32 s5, s9, s5
	s_add_i32 s1, s6, s1
	s_mul_i32 s6, s3, s0
	s_add_i32 s1, s1, s6
	s_mul_i32 s0, s2, s0
	s_lshl_b64 s[0:1], s[0:1], 3
	s_add_u32 s8, s8, s0
	v_and_b32_e32 v0, 31, v0
	s_addc_u32 s9, s12, s1
	s_mul_i32 s0, s18, s13
	s_mul_hi_u32 s1, s18, s7
	v_and_b32_e32 v9, 0x1ffe, v10
	s_add_i32 s6, s1, s0
	v_mad_u64_u32 v[1:2], s[0:1], s26, v9, 0
	v_mad_u64_u32 v[3:4], s[0:1], s2, v0, 0
	s_mul_i32 s12, s19, s7
	v_or_b32_e32 v11, 1, v10
	v_mad_u64_u32 v[5:6], s[0:1], s27, v9, v[2:3]
	v_mov_b32_e32 v2, v4
	v_mad_u64_u32 v[6:7], s[0:1], s3, v0, v[2:3]
	v_mov_b32_e32 v2, v5
	s_add_i32 s1, s6, s12
	v_mov_b32_e32 v4, v6
	v_lshlrev_b64 v[3:4], 3, v[3:4]
	s_mul_i32 s0, s18, s7
	v_mov_b32_e32 v5, s9
	v_add_co_u32_e32 v3, vcc, s8, v3
	v_lshlrev_b64 v[1:2], 3, v[1:2]
	v_mad_u64_u32 v[7:8], s[6:7], s18, v9, 0
	v_addc_co_u32_e32 v4, vcc, v5, v4, vcc
	v_mov_b32_e32 v5, s5
	v_add_co_u32_e32 v1, vcc, s4, v1
	s_lshl_b64 s[4:5], s[26:27], 3
	s_lshl_b64 s[0:1], s[0:1], 3
	s_add_u32 s6, s14, s0
	s_addc_u32 s7, s15, s1
	v_mad_u64_u32 v[8:9], s[0:1], s19, v9, v[8:9]
	v_addc_co_u32_e32 v2, vcc, v5, v2, vcc
	v_lshlrev_b32_e32 v5, 3, v0
	v_add_co_u32_e32 v1, vcc, v1, v5
	v_lshlrev_b64 v[7:8], 3, v[7:8]
	v_addc_co_u32_e32 v2, vcc, 0, v2, vcc
	global_load_dwordx2 v[3:4], v[3:4], off
	v_mov_b32_e32 v12, s7
	v_add_co_u32_e32 v7, vcc, s6, v7
	v_addc_co_u32_e32 v8, vcc, v12, v8, vcc
	global_load_dwordx2 v[7:8], v[7:8], off
	v_mad_u64_u32 v[9:10], s[0:1], s18, v11, 0
	global_load_dwordx2 v[5:6], v[1:2], off
	v_or_b32_e32 v13, 32, v0
	v_mad_u64_u32 v[10:11], s[0:1], s19, v11, v[10:11]
	v_mov_b32_e32 v11, s7
	v_mov_b32_e32 v14, s5
	v_lshlrev_b64 v[9:10], 3, v[9:10]
	v_add_co_u32_e32 v9, vcc, s6, v9
	v_addc_co_u32_e32 v10, vcc, v11, v10, vcc
	v_mad_u64_u32 v[11:12], s[0:1], s2, v13, 0
	global_load_dwordx2 v[9:10], v[9:10], off
	v_mov_b32_e32 v0, v12
	v_mad_u64_u32 v[12:13], s[0:1], s3, v13, v[0:1]
	v_mov_b32_e32 v0, s9
	v_lshlrev_b64 v[11:12], 3, v[11:12]
	v_add_co_u32_e32 v11, vcc, s8, v11
	v_addc_co_u32_e32 v12, vcc, v0, v12, vcc
	v_add_co_u32_e32 v13, vcc, s4, v1
	v_addc_co_u32_e32 v14, vcc, v2, v14, vcc
	global_load_dwordx2 v[11:12], v[11:12], off
	s_nop 0
	global_load_dwordx2 v[15:16], v[13:14], off offset:256
	global_load_dwordx2 v[17:18], v[1:2], off offset:256
	s_waitcnt vmcnt(6)
	v_mul_f32_e32 v0, s11, v4
	v_mul_f32_e32 v19, s10, v4
	v_fma_f32 v0, s10, v3, -v0
	v_fmac_f32_e32 v19, s11, v3
	s_waitcnt vmcnt(5)
	v_mul_f32_e32 v3, v19, v8
	v_mul_f32_e32 v4, v0, v8
	v_fmac_f32_e32 v3, v0, v7
	v_fma_f32 v4, v19, v7, -v4
	s_waitcnt vmcnt(4)
	v_add_f32_e32 v3, v5, v3
	v_add_f32_e32 v4, v4, v6
	global_load_dwordx2 v[5:6], v[13:14], off
	s_waitcnt vmcnt(4)
	v_mul_f32_e32 v20, v19, v10
	v_fmac_f32_e32 v20, v0, v9
	v_mul_f32_e32 v0, v0, v10
	v_fma_f32 v0, v19, v9, -v0
	s_waitcnt vmcnt(0)
	v_add_f32_e32 v6, v0, v6
	v_mul_f32_e32 v0, s11, v12
	v_mul_f32_e32 v12, s10, v12
	v_add_f32_e32 v5, v5, v20
	v_fma_f32 v0, s10, v11, -v0
	v_fmac_f32_e32 v12, s11, v11
	global_store_dwordx2 v[1:2], v[3:4], off
	global_store_dwordx2 v[13:14], v[5:6], off
	v_mul_f32_e32 v3, v12, v8
	v_mul_f32_e32 v4, v0, v8
	;; [unrolled: 1-line block ×3, first 2 shown]
	v_fmac_f32_e32 v3, v0, v7
	v_fma_f32 v4, v12, v7, -v4
	v_fmac_f32_e32 v5, v0, v9
	v_mul_f32_e32 v0, v0, v10
	v_add_f32_e32 v3, v17, v3
	v_add_f32_e32 v4, v4, v18
	v_fma_f32 v0, v12, v9, -v0
	v_add_f32_e32 v5, v15, v5
	v_add_f32_e32 v6, v0, v16
	global_store_dwordx2 v[1:2], v[3:4], off offset:256
	global_store_dwordx2 v[13:14], v[5:6], off offset:256
.LBB28_6:
	s_endpgm
	.section	.rodata,"a",@progbits
	.p2align	6, 0x0
	.amdhsa_kernel _ZL34rocblas_ger_double_buffered_kernelILb1ELi64ELi16ELi2E19rocblas_complex_numIfE24rocblas_internal_val_ptrIS1_EPKS1_PS1_EvbiiT4_lT5_lllS8_lllT6_lmli
		.amdhsa_group_segment_fixed_size 0
		.amdhsa_private_segment_fixed_size 0
		.amdhsa_kernarg_size 132
		.amdhsa_user_sgpr_count 6
		.amdhsa_user_sgpr_private_segment_buffer 1
		.amdhsa_user_sgpr_dispatch_ptr 0
		.amdhsa_user_sgpr_queue_ptr 0
		.amdhsa_user_sgpr_kernarg_segment_ptr 1
		.amdhsa_user_sgpr_dispatch_id 0
		.amdhsa_user_sgpr_flat_scratch_init 0
		.amdhsa_user_sgpr_private_segment_size 0
		.amdhsa_uses_dynamic_stack 0
		.amdhsa_system_sgpr_private_segment_wavefront_offset 0
		.amdhsa_system_sgpr_workgroup_id_x 1
		.amdhsa_system_sgpr_workgroup_id_y 1
		.amdhsa_system_sgpr_workgroup_id_z 1
		.amdhsa_system_sgpr_workgroup_info 0
		.amdhsa_system_vgpr_workitem_id 1
		.amdhsa_next_free_vgpr 21
		.amdhsa_next_free_sgpr 32
		.amdhsa_reserve_vcc 1
		.amdhsa_reserve_flat_scratch 0
		.amdhsa_float_round_mode_32 0
		.amdhsa_float_round_mode_16_64 0
		.amdhsa_float_denorm_mode_32 3
		.amdhsa_float_denorm_mode_16_64 3
		.amdhsa_dx10_clamp 1
		.amdhsa_ieee_mode 1
		.amdhsa_fp16_overflow 0
		.amdhsa_exception_fp_ieee_invalid_op 0
		.amdhsa_exception_fp_denorm_src 0
		.amdhsa_exception_fp_ieee_div_zero 0
		.amdhsa_exception_fp_ieee_overflow 0
		.amdhsa_exception_fp_ieee_underflow 0
		.amdhsa_exception_fp_ieee_inexact 0
		.amdhsa_exception_int_div_zero 0
	.end_amdhsa_kernel
	.section	.text._ZL34rocblas_ger_double_buffered_kernelILb1ELi64ELi16ELi2E19rocblas_complex_numIfE24rocblas_internal_val_ptrIS1_EPKS1_PS1_EvbiiT4_lT5_lllS8_lllT6_lmli,"axG",@progbits,_ZL34rocblas_ger_double_buffered_kernelILb1ELi64ELi16ELi2E19rocblas_complex_numIfE24rocblas_internal_val_ptrIS1_EPKS1_PS1_EvbiiT4_lT5_lllS8_lllT6_lmli,comdat
.Lfunc_end28:
	.size	_ZL34rocblas_ger_double_buffered_kernelILb1ELi64ELi16ELi2E19rocblas_complex_numIfE24rocblas_internal_val_ptrIS1_EPKS1_PS1_EvbiiT4_lT5_lllS8_lllT6_lmli, .Lfunc_end28-_ZL34rocblas_ger_double_buffered_kernelILb1ELi64ELi16ELi2E19rocblas_complex_numIfE24rocblas_internal_val_ptrIS1_EPKS1_PS1_EvbiiT4_lT5_lllS8_lllT6_lmli
                                        ; -- End function
	.set _ZL34rocblas_ger_double_buffered_kernelILb1ELi64ELi16ELi2E19rocblas_complex_numIfE24rocblas_internal_val_ptrIS1_EPKS1_PS1_EvbiiT4_lT5_lllS8_lllT6_lmli.num_vgpr, 21
	.set _ZL34rocblas_ger_double_buffered_kernelILb1ELi64ELi16ELi2E19rocblas_complex_numIfE24rocblas_internal_val_ptrIS1_EPKS1_PS1_EvbiiT4_lT5_lllS8_lllT6_lmli.num_agpr, 0
	.set _ZL34rocblas_ger_double_buffered_kernelILb1ELi64ELi16ELi2E19rocblas_complex_numIfE24rocblas_internal_val_ptrIS1_EPKS1_PS1_EvbiiT4_lT5_lllS8_lllT6_lmli.numbered_sgpr, 32
	.set _ZL34rocblas_ger_double_buffered_kernelILb1ELi64ELi16ELi2E19rocblas_complex_numIfE24rocblas_internal_val_ptrIS1_EPKS1_PS1_EvbiiT4_lT5_lllS8_lllT6_lmli.num_named_barrier, 0
	.set _ZL34rocblas_ger_double_buffered_kernelILb1ELi64ELi16ELi2E19rocblas_complex_numIfE24rocblas_internal_val_ptrIS1_EPKS1_PS1_EvbiiT4_lT5_lllS8_lllT6_lmli.private_seg_size, 0
	.set _ZL34rocblas_ger_double_buffered_kernelILb1ELi64ELi16ELi2E19rocblas_complex_numIfE24rocblas_internal_val_ptrIS1_EPKS1_PS1_EvbiiT4_lT5_lllS8_lllT6_lmli.uses_vcc, 1
	.set _ZL34rocblas_ger_double_buffered_kernelILb1ELi64ELi16ELi2E19rocblas_complex_numIfE24rocblas_internal_val_ptrIS1_EPKS1_PS1_EvbiiT4_lT5_lllS8_lllT6_lmli.uses_flat_scratch, 0
	.set _ZL34rocblas_ger_double_buffered_kernelILb1ELi64ELi16ELi2E19rocblas_complex_numIfE24rocblas_internal_val_ptrIS1_EPKS1_PS1_EvbiiT4_lT5_lllS8_lllT6_lmli.has_dyn_sized_stack, 0
	.set _ZL34rocblas_ger_double_buffered_kernelILb1ELi64ELi16ELi2E19rocblas_complex_numIfE24rocblas_internal_val_ptrIS1_EPKS1_PS1_EvbiiT4_lT5_lllS8_lllT6_lmli.has_recursion, 0
	.set _ZL34rocblas_ger_double_buffered_kernelILb1ELi64ELi16ELi2E19rocblas_complex_numIfE24rocblas_internal_val_ptrIS1_EPKS1_PS1_EvbiiT4_lT5_lllS8_lllT6_lmli.has_indirect_call, 0
	.section	.AMDGPU.csdata,"",@progbits
; Kernel info:
; codeLenInByte = 948
; TotalNumSgprs: 36
; NumVgprs: 21
; ScratchSize: 0
; MemoryBound: 0
; FloatMode: 240
; IeeeMode: 1
; LDSByteSize: 0 bytes/workgroup (compile time only)
; SGPRBlocks: 4
; VGPRBlocks: 5
; NumSGPRsForWavesPerEU: 36
; NumVGPRsForWavesPerEU: 21
; Occupancy: 10
; WaveLimiterHint : 0
; COMPUTE_PGM_RSRC2:SCRATCH_EN: 0
; COMPUTE_PGM_RSRC2:USER_SGPR: 6
; COMPUTE_PGM_RSRC2:TRAP_HANDLER: 0
; COMPUTE_PGM_RSRC2:TGID_X_EN: 1
; COMPUTE_PGM_RSRC2:TGID_Y_EN: 1
; COMPUTE_PGM_RSRC2:TGID_Z_EN: 1
; COMPUTE_PGM_RSRC2:TIDIG_COMP_CNT: 1
	.section	.text._ZL18rocblas_ger_kernelILi32ELi32ELi2ELb1E19rocblas_complex_numIfEPKS1_S3_PS1_EviiT4_lT5_lllS6_lllT6_lmli,"axG",@progbits,_ZL18rocblas_ger_kernelILi32ELi32ELi2ELb1E19rocblas_complex_numIfEPKS1_S3_PS1_EviiT4_lT5_lllS6_lllT6_lmli,comdat
	.globl	_ZL18rocblas_ger_kernelILi32ELi32ELi2ELb1E19rocblas_complex_numIfEPKS1_S3_PS1_EviiT4_lT5_lllS6_lllT6_lmli ; -- Begin function _ZL18rocblas_ger_kernelILi32ELi32ELi2ELb1E19rocblas_complex_numIfEPKS1_S3_PS1_EviiT4_lT5_lllS6_lllT6_lmli
	.p2align	8
	.type	_ZL18rocblas_ger_kernelILi32ELi32ELi2ELb1E19rocblas_complex_numIfEPKS1_S3_PS1_EviiT4_lT5_lllS6_lllT6_lmli,@function
_ZL18rocblas_ger_kernelILi32ELi32ELi2ELb1E19rocblas_complex_numIfEPKS1_S3_PS1_EviiT4_lT5_lllS6_lllT6_lmli: ; @_ZL18rocblas_ger_kernelILi32ELi32ELi2ELb1E19rocblas_complex_numIfEPKS1_S3_PS1_EviiT4_lT5_lllS6_lllT6_lmli
; %bb.0:
	s_load_dwordx2 s[8:9], s[4:5], 0x0
	s_load_dwordx4 s[12:15], s[4:5], 0x8
	s_waitcnt lgkmcnt(0)
	s_add_i32 s0, s8, -1
	s_ashr_i32 s1, s0, 31
	s_lshr_b32 s1, s1, 27
	s_add_i32 s0, s0, s1
	s_ashr_i32 s3, s0, 5
	s_add_i32 s2, s3, 1
	v_cvt_f32_u32_e32 v2, s2
	s_mul_i32 s0, s15, s7
	s_mul_hi_u32 s1, s14, s7
	s_add_i32 s1, s1, s0
	s_mul_i32 s0, s14, s7
	s_lshl_b64 s[0:1], s[0:1], 3
	v_rcp_iflag_f32_e32 v2, v2
	s_add_u32 s0, s12, s0
	s_addc_u32 s1, s13, s1
	s_load_dwordx2 s[10:11], s[0:1], 0x0
	v_mul_f32_e32 v2, 0x4f7ffffe, v2
	v_cvt_u32_f32_e32 v2, v2
	s_waitcnt lgkmcnt(0)
	s_or_b32 s0, s10, s11
	s_bitset0_b32 s0, 31
	s_cmp_eq_u32 s0, 0
	v_readfirstlane_b32 s14, v2
	s_cbranch_scc1 .LBB29_14
; %bb.1:
	s_not_b32 s3, s3
	s_mul_i32 s3, s3, s14
	s_mul_hi_u32 s3, s14, s3
	s_add_i32 s14, s14, s3
	s_mul_hi_u32 s3, s6, s14
	s_mul_i32 s14, s3, s2
	s_sub_i32 s14, s6, s14
	s_add_i32 s15, s3, 1
	s_sub_i32 s16, s14, s2
	s_cmp_ge_u32 s14, s2
	s_cselect_b32 s3, s15, s3
	s_cselect_b32 s14, s16, s14
	s_add_i32 s15, s3, 1
	s_load_dwordx2 s[12:13], s[4:5], 0x58
	s_load_dwordx2 s[0:1], s[4:5], 0x38
	s_cmp_ge_u32 s14, s2
	s_cselect_b32 s16, s15, s3
	s_mul_i32 s2, s16, s2
	s_sub_i32 s2, s6, s2
	v_lshl_add_u32 v2, s2, 5, v0
	v_cmp_eq_u32_e32 vcc, 0, v1
	s_and_saveexec_b64 s[2:3], vcc
	s_cbranch_execz .LBB29_5
; %bb.2:
	v_cmp_gt_i32_e32 vcc, s8, v2
	v_mov_b32_e32 v3, 0
	v_mov_b32_e32 v4, 0
	s_and_saveexec_b64 s[14:15], vcc
	s_cbranch_execz .LBB29_4
; %bb.3:
	s_load_dwordx2 s[18:19], s[4:5], 0x30
	s_load_dwordx2 s[24:25], s[4:5], 0x18
	s_load_dwordx4 s[20:23], s[4:5], 0x20
	v_ashrrev_i32_e32 v3, 31, v2
	s_waitcnt lgkmcnt(0)
	s_mul_i32 s6, s19, s7
	s_mul_hi_u32 s17, s18, s7
	s_mul_i32 s18, s18, s7
	s_add_i32 s19, s17, s6
	s_lshl_b64 s[18:19], s[18:19], 3
	s_add_u32 s6, s24, s18
	s_addc_u32 s17, s25, s19
	v_mul_lo_u32 v5, s23, v2
	v_mul_lo_u32 v6, s22, v3
	v_mad_u64_u32 v[3:4], s[18:19], s22, v2, 0
	s_lshl_b64 s[18:19], s[20:21], 3
	s_add_u32 s6, s6, s18
	v_add3_u32 v4, v4, v6, v5
	v_lshlrev_b64 v[3:4], 3, v[3:4]
	s_addc_u32 s17, s17, s19
	v_mov_b32_e32 v5, s17
	v_add_co_u32_e32 v3, vcc, s6, v3
	v_addc_co_u32_e32 v4, vcc, v5, v4, vcc
	global_load_dwordx2 v[3:4], v[3:4], off
.LBB29_4:
	s_or_b64 exec, exec, s[14:15]
	v_lshlrev_b32_e32 v5, 3, v0
	s_waitcnt vmcnt(0)
	ds_write_b64 v5, v[3:4] offset:512
.LBB29_5:
	s_or_b64 exec, exec, s[2:3]
	v_lshlrev_b32_e32 v5, 1, v1
	v_lshl_add_u32 v1, s16, 6, v5
	v_cmp_gt_u32_e32 vcc, 2, v0
	s_and_saveexec_b64 s[2:3], vcc
	s_cbranch_execz .LBB29_9
; %bb.6:
	v_or_b32_e32 v6, v1, v0
	v_cmp_gt_u32_e32 vcc, s9, v6
	v_mov_b32_e32 v3, 0
	v_mov_b32_e32 v4, 0
	s_and_saveexec_b64 s[14:15], vcc
	s_cbranch_execz .LBB29_8
; %bb.7:
	s_load_dwordx2 s[20:21], s[4:5], 0x50
	s_load_dwordx4 s[16:19], s[4:5], 0x40
	s_waitcnt lgkmcnt(0)
	s_mul_i32 s6, s21, s7
	s_mul_hi_u32 s21, s20, s7
	v_mad_u64_u32 v[3:4], s[22:23], s18, v6, 0
	s_mul_i32 s20, s20, s7
	s_add_i32 s21, s21, s6
	s_lshl_b64 s[20:21], s[20:21], 3
	s_add_u32 s6, s0, s20
	s_addc_u32 s18, s1, s21
	v_mad_u64_u32 v[6:7], s[0:1], s19, v6, v[4:5]
	s_lshl_b64 s[0:1], s[16:17], 3
	s_add_u32 s0, s6, s0
	v_mov_b32_e32 v4, v6
	v_lshlrev_b64 v[3:4], 3, v[3:4]
	s_addc_u32 s1, s18, s1
	v_mov_b32_e32 v6, s1
	v_add_co_u32_e32 v3, vcc, s0, v3
	v_addc_co_u32_e32 v4, vcc, v6, v4, vcc
	global_load_dwordx2 v[3:4], v[3:4], off
.LBB29_8:
	s_or_b64 exec, exec, s[14:15]
	v_lshlrev_b32_e32 v6, 3, v0
	v_lshl_add_u32 v6, v5, 3, v6
	s_waitcnt vmcnt(0)
	ds_write_b64 v6, v[3:4]
.LBB29_9:
	s_or_b64 exec, exec, s[2:3]
	v_cmp_gt_i32_e32 vcc, s8, v2
	s_waitcnt lgkmcnt(0)
	s_barrier
	s_and_saveexec_b64 s[0:1], vcc
	s_cbranch_execz .LBB29_14
; %bb.10:
	s_load_dwordx2 s[14:15], s[4:5], 0x70
	s_load_dwordx4 s[0:3], s[4:5], 0x60
	v_lshlrev_b32_e32 v0, 3, v0
	ds_read_b64 v[3:4], v0 offset:512
	v_lshlrev_b32_e32 v5, 3, v5
	s_waitcnt lgkmcnt(0)
	s_mul_i32 s5, s15, s7
	s_mul_hi_u32 s6, s14, s7
	s_mul_i32 s4, s14, s7
	s_add_i32 s5, s6, s5
	s_lshl_b64 s[4:5], s[4:5], 3
	s_add_u32 s4, s12, s4
	v_mul_f32_e32 v0, s11, v4
	v_mul_f32_e32 v4, s10, v4
	s_addc_u32 s5, s13, s5
	s_lshl_b64 s[0:1], s[0:1], 3
	v_fma_f32 v0, v3, s10, -v0
	v_fmac_f32_e32 v4, s11, v3
	v_ashrrev_i32_e32 v3, 31, v2
	s_add_u32 s0, s4, s0
	v_lshlrev_b64 v[2:3], 3, v[2:3]
	s_addc_u32 s1, s5, s1
	v_mov_b32_e32 v6, s1
	v_add_co_u32_e32 v2, vcc, s0, v2
	v_addc_co_u32_e32 v3, vcc, v6, v3, vcc
	v_cmp_gt_i32_e32 vcc, s9, v1
	s_and_saveexec_b64 s[0:1], vcc
	s_cbranch_execz .LBB29_12
; %bb.11:
	v_ashrrev_i32_e32 v8, 31, v1
	v_mul_lo_u32 v9, s3, v1
	v_mad_u64_u32 v[6:7], s[4:5], s2, v1, 0
	v_mul_lo_u32 v8, s2, v8
	ds_read_b64 v[10:11], v5
	v_add3_u32 v7, v7, v8, v9
	v_lshlrev_b64 v[6:7], 3, v[6:7]
	s_waitcnt lgkmcnt(0)
	v_mul_f32_e32 v12, v4, v11
	v_add_co_u32_e32 v6, vcc, v2, v6
	v_addc_co_u32_e32 v7, vcc, v3, v7, vcc
	global_load_dwordx2 v[8:9], v[6:7], off
	v_mul_f32_e32 v11, v0, v11
	v_fmac_f32_e32 v12, v0, v10
	v_fma_f32 v10, v4, v10, -v11
	s_waitcnt vmcnt(0)
	v_add_f32_e32 v8, v8, v12
	v_add_f32_e32 v9, v10, v9
	global_store_dwordx2 v[6:7], v[8:9], off
.LBB29_12:
	s_or_b64 exec, exec, s[0:1]
	v_or_b32_e32 v1, 1, v1
	v_cmp_gt_i32_e32 vcc, s9, v1
	s_and_b64 exec, exec, vcc
	s_cbranch_execz .LBB29_14
; %bb.13:
	v_ashrrev_i32_e32 v8, 31, v1
	v_mul_lo_u32 v9, s3, v1
	v_mad_u64_u32 v[6:7], s[0:1], s2, v1, 0
	v_mul_lo_u32 v1, s2, v8
	v_add3_u32 v7, v7, v1, v9
	v_lshlrev_b64 v[6:7], 3, v[6:7]
	ds_read_b64 v[8:9], v5 offset:8
	v_add_co_u32_e32 v1, vcc, v2, v6
	v_addc_co_u32_e32 v2, vcc, v3, v7, vcc
	global_load_dwordx2 v[6:7], v[1:2], off
	s_waitcnt lgkmcnt(0)
	v_mul_f32_e32 v3, v4, v9
	v_mul_f32_e32 v5, v0, v9
	v_fmac_f32_e32 v3, v0, v8
	v_fma_f32 v0, v4, v8, -v5
	s_waitcnt vmcnt(0)
	v_add_f32_e32 v3, v6, v3
	v_add_f32_e32 v4, v0, v7
	global_store_dwordx2 v[1:2], v[3:4], off
.LBB29_14:
	s_endpgm
	.section	.rodata,"a",@progbits
	.p2align	6, 0x0
	.amdhsa_kernel _ZL18rocblas_ger_kernelILi32ELi32ELi2ELb1E19rocblas_complex_numIfEPKS1_S3_PS1_EviiT4_lT5_lllS6_lllT6_lmli
		.amdhsa_group_segment_fixed_size 768
		.amdhsa_private_segment_fixed_size 0
		.amdhsa_kernarg_size 124
		.amdhsa_user_sgpr_count 6
		.amdhsa_user_sgpr_private_segment_buffer 1
		.amdhsa_user_sgpr_dispatch_ptr 0
		.amdhsa_user_sgpr_queue_ptr 0
		.amdhsa_user_sgpr_kernarg_segment_ptr 1
		.amdhsa_user_sgpr_dispatch_id 0
		.amdhsa_user_sgpr_flat_scratch_init 0
		.amdhsa_user_sgpr_private_segment_size 0
		.amdhsa_uses_dynamic_stack 0
		.amdhsa_system_sgpr_private_segment_wavefront_offset 0
		.amdhsa_system_sgpr_workgroup_id_x 1
		.amdhsa_system_sgpr_workgroup_id_y 0
		.amdhsa_system_sgpr_workgroup_id_z 1
		.amdhsa_system_sgpr_workgroup_info 0
		.amdhsa_system_vgpr_workitem_id 1
		.amdhsa_next_free_vgpr 13
		.amdhsa_next_free_sgpr 26
		.amdhsa_reserve_vcc 1
		.amdhsa_reserve_flat_scratch 0
		.amdhsa_float_round_mode_32 0
		.amdhsa_float_round_mode_16_64 0
		.amdhsa_float_denorm_mode_32 3
		.amdhsa_float_denorm_mode_16_64 3
		.amdhsa_dx10_clamp 1
		.amdhsa_ieee_mode 1
		.amdhsa_fp16_overflow 0
		.amdhsa_exception_fp_ieee_invalid_op 0
		.amdhsa_exception_fp_denorm_src 0
		.amdhsa_exception_fp_ieee_div_zero 0
		.amdhsa_exception_fp_ieee_overflow 0
		.amdhsa_exception_fp_ieee_underflow 0
		.amdhsa_exception_fp_ieee_inexact 0
		.amdhsa_exception_int_div_zero 0
	.end_amdhsa_kernel
	.section	.text._ZL18rocblas_ger_kernelILi32ELi32ELi2ELb1E19rocblas_complex_numIfEPKS1_S3_PS1_EviiT4_lT5_lllS6_lllT6_lmli,"axG",@progbits,_ZL18rocblas_ger_kernelILi32ELi32ELi2ELb1E19rocblas_complex_numIfEPKS1_S3_PS1_EviiT4_lT5_lllS6_lllT6_lmli,comdat
.Lfunc_end29:
	.size	_ZL18rocblas_ger_kernelILi32ELi32ELi2ELb1E19rocblas_complex_numIfEPKS1_S3_PS1_EviiT4_lT5_lllS6_lllT6_lmli, .Lfunc_end29-_ZL18rocblas_ger_kernelILi32ELi32ELi2ELb1E19rocblas_complex_numIfEPKS1_S3_PS1_EviiT4_lT5_lllS6_lllT6_lmli
                                        ; -- End function
	.set _ZL18rocblas_ger_kernelILi32ELi32ELi2ELb1E19rocblas_complex_numIfEPKS1_S3_PS1_EviiT4_lT5_lllS6_lllT6_lmli.num_vgpr, 13
	.set _ZL18rocblas_ger_kernelILi32ELi32ELi2ELb1E19rocblas_complex_numIfEPKS1_S3_PS1_EviiT4_lT5_lllS6_lllT6_lmli.num_agpr, 0
	.set _ZL18rocblas_ger_kernelILi32ELi32ELi2ELb1E19rocblas_complex_numIfEPKS1_S3_PS1_EviiT4_lT5_lllS6_lllT6_lmli.numbered_sgpr, 26
	.set _ZL18rocblas_ger_kernelILi32ELi32ELi2ELb1E19rocblas_complex_numIfEPKS1_S3_PS1_EviiT4_lT5_lllS6_lllT6_lmli.num_named_barrier, 0
	.set _ZL18rocblas_ger_kernelILi32ELi32ELi2ELb1E19rocblas_complex_numIfEPKS1_S3_PS1_EviiT4_lT5_lllS6_lllT6_lmli.private_seg_size, 0
	.set _ZL18rocblas_ger_kernelILi32ELi32ELi2ELb1E19rocblas_complex_numIfEPKS1_S3_PS1_EviiT4_lT5_lllS6_lllT6_lmli.uses_vcc, 1
	.set _ZL18rocblas_ger_kernelILi32ELi32ELi2ELb1E19rocblas_complex_numIfEPKS1_S3_PS1_EviiT4_lT5_lllS6_lllT6_lmli.uses_flat_scratch, 0
	.set _ZL18rocblas_ger_kernelILi32ELi32ELi2ELb1E19rocblas_complex_numIfEPKS1_S3_PS1_EviiT4_lT5_lllS6_lllT6_lmli.has_dyn_sized_stack, 0
	.set _ZL18rocblas_ger_kernelILi32ELi32ELi2ELb1E19rocblas_complex_numIfEPKS1_S3_PS1_EviiT4_lT5_lllS6_lllT6_lmli.has_recursion, 0
	.set _ZL18rocblas_ger_kernelILi32ELi32ELi2ELb1E19rocblas_complex_numIfEPKS1_S3_PS1_EviiT4_lT5_lllS6_lllT6_lmli.has_indirect_call, 0
	.section	.AMDGPU.csdata,"",@progbits
; Kernel info:
; codeLenInByte = 992
; TotalNumSgprs: 30
; NumVgprs: 13
; ScratchSize: 0
; MemoryBound: 0
; FloatMode: 240
; IeeeMode: 1
; LDSByteSize: 768 bytes/workgroup (compile time only)
; SGPRBlocks: 3
; VGPRBlocks: 3
; NumSGPRsForWavesPerEU: 30
; NumVGPRsForWavesPerEU: 13
; Occupancy: 10
; WaveLimiterHint : 0
; COMPUTE_PGM_RSRC2:SCRATCH_EN: 0
; COMPUTE_PGM_RSRC2:USER_SGPR: 6
; COMPUTE_PGM_RSRC2:TRAP_HANDLER: 0
; COMPUTE_PGM_RSRC2:TGID_X_EN: 1
; COMPUTE_PGM_RSRC2:TGID_Y_EN: 0
; COMPUTE_PGM_RSRC2:TGID_Z_EN: 1
; COMPUTE_PGM_RSRC2:TIDIG_COMP_CNT: 1
	.section	.text._ZL18rocblas_ger_kernelILi32ELi32ELi2ELb1E19rocblas_complex_numIfES1_PKS1_PS1_EviiT4_lT5_lllS6_lllT6_lmli,"axG",@progbits,_ZL18rocblas_ger_kernelILi32ELi32ELi2ELb1E19rocblas_complex_numIfES1_PKS1_PS1_EviiT4_lT5_lllS6_lllT6_lmli,comdat
	.globl	_ZL18rocblas_ger_kernelILi32ELi32ELi2ELb1E19rocblas_complex_numIfES1_PKS1_PS1_EviiT4_lT5_lllS6_lllT6_lmli ; -- Begin function _ZL18rocblas_ger_kernelILi32ELi32ELi2ELb1E19rocblas_complex_numIfES1_PKS1_PS1_EviiT4_lT5_lllS6_lllT6_lmli
	.p2align	8
	.type	_ZL18rocblas_ger_kernelILi32ELi32ELi2ELb1E19rocblas_complex_numIfES1_PKS1_PS1_EviiT4_lT5_lllS6_lllT6_lmli,@function
_ZL18rocblas_ger_kernelILi32ELi32ELi2ELb1E19rocblas_complex_numIfES1_PKS1_PS1_EviiT4_lT5_lllS6_lllT6_lmli: ; @_ZL18rocblas_ger_kernelILi32ELi32ELi2ELb1E19rocblas_complex_numIfES1_PKS1_PS1_EviiT4_lT5_lllS6_lllT6_lmli
; %bb.0:
	s_load_dwordx4 s[0:3], s[4:5], 0x0
	s_waitcnt lgkmcnt(0)
	s_add_i32 s8, s0, -1
	s_ashr_i32 s9, s8, 31
	s_lshr_b32 s9, s9, 27
	s_add_i32 s8, s8, s9
	s_ashr_i32 s11, s8, 5
	s_add_i32 s10, s11, 1
	v_cvt_f32_u32_e32 v2, s10
	s_or_b32 s8, s2, s3
	s_bitset0_b32 s8, 31
	s_cmp_eq_u32 s8, 0
	v_rcp_iflag_f32_e32 v2, v2
	v_mul_f32_e32 v2, 0x4f7ffffe, v2
	v_cvt_u32_f32_e32 v2, v2
	v_readfirstlane_b32 s14, v2
	s_cbranch_scc1 .LBB30_14
; %bb.1:
	s_not_b32 s11, s11
	s_mul_i32 s11, s11, s14
	s_mul_hi_u32 s11, s14, s11
	s_add_i32 s14, s14, s11
	s_mul_hi_u32 s11, s6, s14
	s_mul_i32 s14, s11, s10
	s_sub_i32 s14, s6, s14
	s_add_i32 s15, s11, 1
	s_sub_i32 s16, s14, s10
	s_cmp_ge_u32 s14, s10
	s_cselect_b32 s11, s15, s11
	s_cselect_b32 s14, s16, s14
	s_add_i32 s15, s11, 1
	s_load_dwordx2 s[12:13], s[4:5], 0x58
	s_load_dwordx2 s[8:9], s[4:5], 0x38
	s_cmp_ge_u32 s14, s10
	s_cselect_b32 s16, s15, s11
	s_mul_i32 s10, s16, s10
	s_sub_i32 s6, s6, s10
	v_lshl_add_u32 v2, s6, 5, v0
	v_cmp_eq_u32_e32 vcc, 0, v1
	s_and_saveexec_b64 s[10:11], vcc
	s_cbranch_execz .LBB30_5
; %bb.2:
	v_cmp_gt_i32_e32 vcc, s0, v2
	v_mov_b32_e32 v3, 0
	v_mov_b32_e32 v4, 0
	s_and_saveexec_b64 s[14:15], vcc
	s_cbranch_execz .LBB30_4
; %bb.3:
	s_load_dwordx2 s[18:19], s[4:5], 0x30
	s_load_dwordx2 s[24:25], s[4:5], 0x18
	s_load_dwordx4 s[20:23], s[4:5], 0x20
	v_ashrrev_i32_e32 v3, 31, v2
	s_waitcnt lgkmcnt(0)
	s_mul_i32 s6, s19, s7
	s_mul_hi_u32 s17, s18, s7
	s_mul_i32 s18, s18, s7
	s_add_i32 s19, s17, s6
	s_lshl_b64 s[18:19], s[18:19], 3
	s_add_u32 s6, s24, s18
	s_addc_u32 s17, s25, s19
	v_mul_lo_u32 v5, s23, v2
	v_mul_lo_u32 v6, s22, v3
	v_mad_u64_u32 v[3:4], s[18:19], s22, v2, 0
	s_lshl_b64 s[18:19], s[20:21], 3
	s_add_u32 s6, s6, s18
	v_add3_u32 v4, v4, v6, v5
	v_lshlrev_b64 v[3:4], 3, v[3:4]
	s_addc_u32 s17, s17, s19
	v_mov_b32_e32 v5, s17
	v_add_co_u32_e32 v3, vcc, s6, v3
	v_addc_co_u32_e32 v4, vcc, v5, v4, vcc
	global_load_dwordx2 v[3:4], v[3:4], off
.LBB30_4:
	s_or_b64 exec, exec, s[14:15]
	v_lshlrev_b32_e32 v5, 3, v0
	s_waitcnt vmcnt(0)
	ds_write_b64 v5, v[3:4] offset:512
.LBB30_5:
	s_or_b64 exec, exec, s[10:11]
	v_lshlrev_b32_e32 v5, 1, v1
	v_lshl_add_u32 v1, s16, 6, v5
	v_cmp_gt_u32_e32 vcc, 2, v0
	s_and_saveexec_b64 s[10:11], vcc
	s_cbranch_execz .LBB30_9
; %bb.6:
	v_or_b32_e32 v6, v1, v0
	v_cmp_gt_u32_e32 vcc, s1, v6
	v_mov_b32_e32 v3, 0
	v_mov_b32_e32 v4, 0
	s_and_saveexec_b64 s[14:15], vcc
	s_cbranch_execz .LBB30_8
; %bb.7:
	s_load_dwordx2 s[20:21], s[4:5], 0x50
	s_load_dwordx4 s[16:19], s[4:5], 0x40
	s_waitcnt lgkmcnt(0)
	s_mul_i32 s6, s21, s7
	s_mul_hi_u32 s21, s20, s7
	v_mad_u64_u32 v[3:4], s[22:23], s18, v6, 0
	s_mul_i32 s20, s20, s7
	s_add_i32 s21, s21, s6
	s_lshl_b64 s[20:21], s[20:21], 3
	s_add_u32 s6, s8, s20
	s_addc_u32 s18, s9, s21
	v_mad_u64_u32 v[6:7], s[8:9], s19, v6, v[4:5]
	s_lshl_b64 s[8:9], s[16:17], 3
	s_add_u32 s6, s6, s8
	v_mov_b32_e32 v4, v6
	v_lshlrev_b64 v[3:4], 3, v[3:4]
	s_addc_u32 s8, s18, s9
	v_mov_b32_e32 v6, s8
	v_add_co_u32_e32 v3, vcc, s6, v3
	v_addc_co_u32_e32 v4, vcc, v6, v4, vcc
	global_load_dwordx2 v[3:4], v[3:4], off
.LBB30_8:
	s_or_b64 exec, exec, s[14:15]
	v_lshlrev_b32_e32 v6, 3, v0
	v_lshl_add_u32 v6, v5, 3, v6
	s_waitcnt vmcnt(0)
	ds_write_b64 v6, v[3:4]
.LBB30_9:
	s_or_b64 exec, exec, s[10:11]
	v_cmp_gt_i32_e32 vcc, s0, v2
	s_waitcnt lgkmcnt(0)
	s_barrier
	s_and_saveexec_b64 s[8:9], vcc
	s_cbranch_execz .LBB30_14
; %bb.10:
	s_load_dwordx2 s[14:15], s[4:5], 0x70
	s_load_dwordx4 s[8:11], s[4:5], 0x60
	v_lshlrev_b32_e32 v0, 3, v0
	ds_read_b64 v[3:4], v0 offset:512
	v_lshlrev_b32_e32 v5, 3, v5
	s_waitcnt lgkmcnt(0)
	s_mul_i32 s0, s15, s7
	s_mul_hi_u32 s5, s14, s7
	s_mul_i32 s4, s14, s7
	s_add_i32 s5, s5, s0
	s_lshl_b64 s[4:5], s[4:5], 3
	s_add_u32 s0, s12, s4
	v_mul_f32_e32 v0, s3, v4
	v_mul_f32_e32 v4, s2, v4
	s_addc_u32 s6, s13, s5
	s_lshl_b64 s[4:5], s[8:9], 3
	v_fma_f32 v0, v3, s2, -v0
	v_fmac_f32_e32 v4, s3, v3
	v_ashrrev_i32_e32 v3, 31, v2
	s_add_u32 s0, s0, s4
	v_lshlrev_b64 v[2:3], 3, v[2:3]
	s_addc_u32 s4, s6, s5
	v_mov_b32_e32 v6, s4
	v_add_co_u32_e32 v2, vcc, s0, v2
	v_addc_co_u32_e32 v3, vcc, v6, v3, vcc
	v_cmp_gt_i32_e32 vcc, s1, v1
	s_and_saveexec_b64 s[2:3], vcc
	s_cbranch_execz .LBB30_12
; %bb.11:
	v_ashrrev_i32_e32 v8, 31, v1
	v_mul_lo_u32 v9, s11, v1
	v_mad_u64_u32 v[6:7], s[4:5], s10, v1, 0
	v_mul_lo_u32 v8, s10, v8
	ds_read_b64 v[10:11], v5
	v_add3_u32 v7, v7, v8, v9
	v_lshlrev_b64 v[6:7], 3, v[6:7]
	s_waitcnt lgkmcnt(0)
	v_mul_f32_e32 v12, v4, v11
	v_add_co_u32_e32 v6, vcc, v2, v6
	v_addc_co_u32_e32 v7, vcc, v3, v7, vcc
	global_load_dwordx2 v[8:9], v[6:7], off
	v_mul_f32_e32 v11, v0, v11
	v_fmac_f32_e32 v12, v0, v10
	v_fma_f32 v10, v4, v10, -v11
	s_waitcnt vmcnt(0)
	v_add_f32_e32 v8, v8, v12
	v_add_f32_e32 v9, v10, v9
	global_store_dwordx2 v[6:7], v[8:9], off
.LBB30_12:
	s_or_b64 exec, exec, s[2:3]
	v_or_b32_e32 v1, 1, v1
	v_cmp_gt_i32_e32 vcc, s1, v1
	s_and_b64 exec, exec, vcc
	s_cbranch_execz .LBB30_14
; %bb.13:
	v_ashrrev_i32_e32 v8, 31, v1
	v_mul_lo_u32 v9, s11, v1
	v_mad_u64_u32 v[6:7], s[0:1], s10, v1, 0
	v_mul_lo_u32 v1, s10, v8
	v_add3_u32 v7, v7, v1, v9
	v_lshlrev_b64 v[6:7], 3, v[6:7]
	ds_read_b64 v[8:9], v5 offset:8
	v_add_co_u32_e32 v1, vcc, v2, v6
	v_addc_co_u32_e32 v2, vcc, v3, v7, vcc
	global_load_dwordx2 v[6:7], v[1:2], off
	s_waitcnt lgkmcnt(0)
	v_mul_f32_e32 v3, v4, v9
	v_mul_f32_e32 v5, v0, v9
	v_fmac_f32_e32 v3, v0, v8
	v_fma_f32 v0, v4, v8, -v5
	s_waitcnt vmcnt(0)
	v_add_f32_e32 v3, v6, v3
	v_add_f32_e32 v4, v0, v7
	global_store_dwordx2 v[1:2], v[3:4], off
.LBB30_14:
	s_endpgm
	.section	.rodata,"a",@progbits
	.p2align	6, 0x0
	.amdhsa_kernel _ZL18rocblas_ger_kernelILi32ELi32ELi2ELb1E19rocblas_complex_numIfES1_PKS1_PS1_EviiT4_lT5_lllS6_lllT6_lmli
		.amdhsa_group_segment_fixed_size 768
		.amdhsa_private_segment_fixed_size 0
		.amdhsa_kernarg_size 124
		.amdhsa_user_sgpr_count 6
		.amdhsa_user_sgpr_private_segment_buffer 1
		.amdhsa_user_sgpr_dispatch_ptr 0
		.amdhsa_user_sgpr_queue_ptr 0
		.amdhsa_user_sgpr_kernarg_segment_ptr 1
		.amdhsa_user_sgpr_dispatch_id 0
		.amdhsa_user_sgpr_flat_scratch_init 0
		.amdhsa_user_sgpr_private_segment_size 0
		.amdhsa_uses_dynamic_stack 0
		.amdhsa_system_sgpr_private_segment_wavefront_offset 0
		.amdhsa_system_sgpr_workgroup_id_x 1
		.amdhsa_system_sgpr_workgroup_id_y 0
		.amdhsa_system_sgpr_workgroup_id_z 1
		.amdhsa_system_sgpr_workgroup_info 0
		.amdhsa_system_vgpr_workitem_id 1
		.amdhsa_next_free_vgpr 13
		.amdhsa_next_free_sgpr 26
		.amdhsa_reserve_vcc 1
		.amdhsa_reserve_flat_scratch 0
		.amdhsa_float_round_mode_32 0
		.amdhsa_float_round_mode_16_64 0
		.amdhsa_float_denorm_mode_32 3
		.amdhsa_float_denorm_mode_16_64 3
		.amdhsa_dx10_clamp 1
		.amdhsa_ieee_mode 1
		.amdhsa_fp16_overflow 0
		.amdhsa_exception_fp_ieee_invalid_op 0
		.amdhsa_exception_fp_denorm_src 0
		.amdhsa_exception_fp_ieee_div_zero 0
		.amdhsa_exception_fp_ieee_overflow 0
		.amdhsa_exception_fp_ieee_underflow 0
		.amdhsa_exception_fp_ieee_inexact 0
		.amdhsa_exception_int_div_zero 0
	.end_amdhsa_kernel
	.section	.text._ZL18rocblas_ger_kernelILi32ELi32ELi2ELb1E19rocblas_complex_numIfES1_PKS1_PS1_EviiT4_lT5_lllS6_lllT6_lmli,"axG",@progbits,_ZL18rocblas_ger_kernelILi32ELi32ELi2ELb1E19rocblas_complex_numIfES1_PKS1_PS1_EviiT4_lT5_lllS6_lllT6_lmli,comdat
.Lfunc_end30:
	.size	_ZL18rocblas_ger_kernelILi32ELi32ELi2ELb1E19rocblas_complex_numIfES1_PKS1_PS1_EviiT4_lT5_lllS6_lllT6_lmli, .Lfunc_end30-_ZL18rocblas_ger_kernelILi32ELi32ELi2ELb1E19rocblas_complex_numIfES1_PKS1_PS1_EviiT4_lT5_lllS6_lllT6_lmli
                                        ; -- End function
	.set _ZL18rocblas_ger_kernelILi32ELi32ELi2ELb1E19rocblas_complex_numIfES1_PKS1_PS1_EviiT4_lT5_lllS6_lllT6_lmli.num_vgpr, 13
	.set _ZL18rocblas_ger_kernelILi32ELi32ELi2ELb1E19rocblas_complex_numIfES1_PKS1_PS1_EviiT4_lT5_lllS6_lllT6_lmli.num_agpr, 0
	.set _ZL18rocblas_ger_kernelILi32ELi32ELi2ELb1E19rocblas_complex_numIfES1_PKS1_PS1_EviiT4_lT5_lllS6_lllT6_lmli.numbered_sgpr, 26
	.set _ZL18rocblas_ger_kernelILi32ELi32ELi2ELb1E19rocblas_complex_numIfES1_PKS1_PS1_EviiT4_lT5_lllS6_lllT6_lmli.num_named_barrier, 0
	.set _ZL18rocblas_ger_kernelILi32ELi32ELi2ELb1E19rocblas_complex_numIfES1_PKS1_PS1_EviiT4_lT5_lllS6_lllT6_lmli.private_seg_size, 0
	.set _ZL18rocblas_ger_kernelILi32ELi32ELi2ELb1E19rocblas_complex_numIfES1_PKS1_PS1_EviiT4_lT5_lllS6_lllT6_lmli.uses_vcc, 1
	.set _ZL18rocblas_ger_kernelILi32ELi32ELi2ELb1E19rocblas_complex_numIfES1_PKS1_PS1_EviiT4_lT5_lllS6_lllT6_lmli.uses_flat_scratch, 0
	.set _ZL18rocblas_ger_kernelILi32ELi32ELi2ELb1E19rocblas_complex_numIfES1_PKS1_PS1_EviiT4_lT5_lllS6_lllT6_lmli.has_dyn_sized_stack, 0
	.set _ZL18rocblas_ger_kernelILi32ELi32ELi2ELb1E19rocblas_complex_numIfES1_PKS1_PS1_EviiT4_lT5_lllS6_lllT6_lmli.has_recursion, 0
	.set _ZL18rocblas_ger_kernelILi32ELi32ELi2ELb1E19rocblas_complex_numIfES1_PKS1_PS1_EviiT4_lT5_lllS6_lllT6_lmli.has_indirect_call, 0
	.section	.AMDGPU.csdata,"",@progbits
; Kernel info:
; codeLenInByte = 944
; TotalNumSgprs: 30
; NumVgprs: 13
; ScratchSize: 0
; MemoryBound: 0
; FloatMode: 240
; IeeeMode: 1
; LDSByteSize: 768 bytes/workgroup (compile time only)
; SGPRBlocks: 3
; VGPRBlocks: 3
; NumSGPRsForWavesPerEU: 30
; NumVGPRsForWavesPerEU: 13
; Occupancy: 10
; WaveLimiterHint : 0
; COMPUTE_PGM_RSRC2:SCRATCH_EN: 0
; COMPUTE_PGM_RSRC2:USER_SGPR: 6
; COMPUTE_PGM_RSRC2:TRAP_HANDLER: 0
; COMPUTE_PGM_RSRC2:TGID_X_EN: 1
; COMPUTE_PGM_RSRC2:TGID_Y_EN: 0
; COMPUTE_PGM_RSRC2:TGID_Z_EN: 1
; COMPUTE_PGM_RSRC2:TIDIG_COMP_CNT: 1
	.section	.text._ZL34rocblas_ger_double_buffered_kernelILb1ELi64ELi16ELi2E19rocblas_complex_numIdE24rocblas_internal_val_ptrIS1_EPKS1_PS1_EvbiiT4_lT5_lllS8_lllT6_lmli,"axG",@progbits,_ZL34rocblas_ger_double_buffered_kernelILb1ELi64ELi16ELi2E19rocblas_complex_numIdE24rocblas_internal_val_ptrIS1_EPKS1_PS1_EvbiiT4_lT5_lllS8_lllT6_lmli,comdat
	.globl	_ZL34rocblas_ger_double_buffered_kernelILb1ELi64ELi16ELi2E19rocblas_complex_numIdE24rocblas_internal_val_ptrIS1_EPKS1_PS1_EvbiiT4_lT5_lllS8_lllT6_lmli ; -- Begin function _ZL34rocblas_ger_double_buffered_kernelILb1ELi64ELi16ELi2E19rocblas_complex_numIdE24rocblas_internal_val_ptrIS1_EPKS1_PS1_EvbiiT4_lT5_lllS8_lllT6_lmli
	.p2align	8
	.type	_ZL34rocblas_ger_double_buffered_kernelILb1ELi64ELi16ELi2E19rocblas_complex_numIdE24rocblas_internal_val_ptrIS1_EPKS1_PS1_EvbiiT4_lT5_lllS8_lllT6_lmli,@function
_ZL34rocblas_ger_double_buffered_kernelILb1ELi64ELi16ELi2E19rocblas_complex_numIdE24rocblas_internal_val_ptrIS1_EPKS1_PS1_EvbiiT4_lT5_lllS8_lllT6_lmli: ; @_ZL34rocblas_ger_double_buffered_kernelILb1ELi64ELi16ELi2E19rocblas_complex_numIdE24rocblas_internal_val_ptrIS1_EPKS1_PS1_EvbiiT4_lT5_lllS8_lllT6_lmli
; %bb.0:
	s_load_dword s0, s[4:5], 0x0
	s_load_dwordx2 s[10:11], s[4:5], 0x10
	s_waitcnt lgkmcnt(0)
	s_bitcmp0_b32 s0, 0
	s_cbranch_scc0 .LBB31_2
; %bb.1:
	s_load_dwordx2 s[0:1], s[4:5], 0x20
	s_waitcnt lgkmcnt(0)
	s_mul_i32 s1, s1, s8
	s_mul_hi_u32 s2, s0, s8
	s_add_i32 s1, s2, s1
	s_mul_i32 s0, s0, s8
	s_lshl_b64 s[0:1], s[0:1], 4
	s_add_u32 s12, s10, s0
	s_addc_u32 s13, s11, s1
	s_load_dwordx4 s[0:3], s[12:13], 0x0
	s_cbranch_execz .LBB31_3
	s_branch .LBB31_4
.LBB31_2:
                                        ; implicit-def: $sgpr2_sgpr3
.LBB31_3:
	s_waitcnt lgkmcnt(0)
	s_load_dwordx2 s[2:3], s[4:5], 0x18
	s_mov_b64 s[0:1], s[10:11]
.LBB31_4:
	s_waitcnt lgkmcnt(0)
	v_cmp_neq_f64_e64 s[10:11], s[0:1], 0
	v_cmp_neq_f64_e64 s[12:13], s[2:3], 0
	s_or_b64 s[10:11], s[10:11], s[12:13]
	s_andn2_b64 vcc, exec, s[10:11]
	s_cbranch_vccnz .LBB31_6
; %bb.5:
	s_load_dwordx8 s[20:27], s[4:5], 0x60
	s_load_dwordx8 s[12:19], s[4:5], 0x40
	s_load_dwordx2 s[10:11], s[4:5], 0x80
	s_load_dwordx2 s[34:35], s[4:5], 0x28
	s_load_dwordx4 s[28:31], s[4:5], 0x30
	v_and_b32_e32 v8, 31, v0
	v_lshl_add_u32 v3, v1, 6, v0
	s_waitcnt lgkmcnt(0)
	s_mul_i32 s4, s11, s8
	s_mul_hi_u32 s5, s10, s8
	s_add_i32 s5, s5, s4
	s_mul_i32 s4, s10, s8
	s_lshl_b64 s[4:5], s[4:5], 4
	s_add_u32 s9, s22, s4
	s_addc_u32 s10, s23, s5
	s_lshl_b64 s[4:5], s[24:25], 4
	s_add_u32 s11, s9, s4
	s_addc_u32 s10, s10, s5
	s_mul_i32 s4, s21, s8
	s_mul_hi_u32 s5, s20, s8
	s_add_i32 s5, s5, s4
	s_mul_i32 s4, s20, s8
	s_lshl_b64 s[4:5], s[4:5], 4
	s_add_u32 s9, s14, s4
	s_addc_u32 s14, s15, s5
	s_lshl_b64 s[4:5], s[16:17], 4
	s_add_u32 s15, s9, s4
	s_addc_u32 s14, s14, s5
	;; [unrolled: 10-line block ×3, first 2 shown]
	s_lshl_b32 s4, s6, 6
	s_ashr_i32 s5, s4, 31
	s_lshl_b64 s[8:9], s[4:5], 4
	s_add_u32 s8, s11, s8
	s_addc_u32 s9, s10, s9
	s_lshl_b32 s10, s7, 6
	s_ashr_i32 s11, s10, 31
	s_mul_i32 s6, s26, s11
	s_mul_hi_u32 s7, s26, s10
	s_add_i32 s6, s7, s6
	s_mul_i32 s7, s27, s10
	s_add_i32 s7, s6, s7
	s_mul_i32 s6, s26, s10
	s_lshl_b64 s[6:7], s[6:7], 4
	s_add_u32 s16, s8, s6
	s_mul_i32 s5, s30, s5
	s_mul_hi_u32 s6, s30, s4
	s_addc_u32 s17, s9, s7
	s_add_i32 s5, s6, s5
	s_mul_i32 s6, s31, s4
	s_add_i32 s5, s5, s6
	s_mul_i32 s4, s30, s4
	s_lshl_b64 s[4:5], s[4:5], 4
	s_add_u32 s7, s12, s4
	s_addc_u32 s6, s13, s5
	v_mad_u64_u32 v[0:1], s[4:5], s30, v8, 0
	s_mul_i32 s4, s18, s11
	s_mul_hi_u32 s5, s18, s10
	s_add_i32 s8, s5, s4
	v_mad_u64_u32 v[1:2], s[4:5], s31, v8, v[1:2]
	v_mov_b32_e32 v2, s6
	v_lshrrev_b32_e32 v9, 4, v3
	v_lshlrev_b64 v[0:1], 4, v[0:1]
	v_and_b32_e32 v14, 0x1ffe, v9
	v_add_co_u32_e32 v0, vcc, s7, v0
	v_addc_co_u32_e32 v1, vcc, v2, v1, vcc
	global_load_dwordx4 v[0:3], v[0:1], off
	v_mad_u64_u32 v[4:5], s[4:5], s18, v14, 0
	s_mul_i32 s9, s19, s10
	s_add_i32 s9, s8, s9
	s_mul_i32 s8, s18, s10
	v_mad_u64_u32 v[5:6], s[10:11], s19, v14, v[5:6]
	s_lshl_b64 s[4:5], s[26:27], 4
	s_lshl_b64 s[8:9], s[8:9], 4
	s_add_u32 s10, s15, s8
	v_lshlrev_b64 v[4:5], 4, v[4:5]
	s_addc_u32 s11, s14, s9
	v_mov_b32_e32 v10, s11
	v_add_co_u32_e32 v4, vcc, s10, v4
	v_addc_co_u32_e32 v5, vcc, v10, v5, vcc
	v_mad_u64_u32 v[6:7], s[8:9], s26, v14, 0
	global_load_dwordx4 v[10:13], v[4:5], off
	v_mov_b32_e32 v4, v7
	v_mad_u64_u32 v[4:5], s[8:9], s27, v14, v[4:5]
	v_mov_b32_e32 v7, v4
	v_lshlrev_b64 v[4:5], 4, v[6:7]
	v_mov_b32_e32 v6, s17
	v_add_co_u32_e32 v4, vcc, s16, v4
	v_addc_co_u32_e32 v5, vcc, v6, v5, vcc
	v_lshlrev_b32_e32 v6, 4, v8
	v_add_co_u32_e32 v4, vcc, v4, v6
	v_addc_co_u32_e32 v5, vcc, 0, v5, vcc
	global_load_dwordx4 v[14:17], v[4:5], off
	s_waitcnt vmcnt(2)
	v_mul_f64 v[6:7], s[0:1], v[2:3]
	v_mul_f64 v[2:3], s[2:3], v[2:3]
	v_fma_f64 v[6:7], s[2:3], v[0:1], v[6:7]
	v_fma_f64 v[18:19], s[0:1], v[0:1], -v[2:3]
	s_waitcnt vmcnt(1)
	v_mul_f64 v[2:3], v[18:19], v[12:13]
	v_mul_f64 v[0:1], v[6:7], v[12:13]
	v_fma_f64 v[2:3], v[6:7], v[10:11], -v[2:3]
	v_fma_f64 v[0:1], v[18:19], v[10:11], v[0:1]
	s_waitcnt vmcnt(0)
	v_add_f64 v[2:3], v[2:3], v[16:17]
	v_or_b32_e32 v16, 32, v8
	v_add_f64 v[0:1], v[14:15], v[0:1]
	v_mad_u64_u32 v[14:15], s[8:9], s30, v16, 0
	v_mov_b32_e32 v8, v15
	v_mad_u64_u32 v[15:16], s[8:9], s31, v16, v[8:9]
	v_mov_b32_e32 v8, s6
	v_lshlrev_b64 v[14:15], 4, v[14:15]
	v_add_co_u32_e32 v14, vcc, s7, v14
	v_addc_co_u32_e32 v15, vcc, v8, v15, vcc
	global_load_dwordx4 v[14:17], v[14:15], off
	s_waitcnt vmcnt(0)
	v_mul_f64 v[20:21], s[0:1], v[16:17]
	v_mul_f64 v[16:17], s[2:3], v[16:17]
	v_fma_f64 v[20:21], s[2:3], v[14:15], v[20:21]
	v_fma_f64 v[14:15], s[0:1], v[14:15], -v[16:17]
	v_mul_f64 v[16:17], v[20:21], v[12:13]
	v_mul_f64 v[12:13], v[14:15], v[12:13]
	v_fma_f64 v[16:17], v[14:15], v[10:11], v[16:17]
	v_fma_f64 v[22:23], v[20:21], v[10:11], -v[12:13]
	v_or_b32_e32 v10, 1, v9
	v_mad_u64_u32 v[8:9], s[0:1], s18, v10, 0
	v_mad_u64_u32 v[9:10], s[0:1], s19, v10, v[9:10]
	v_mov_b32_e32 v10, s11
	v_lshlrev_b64 v[8:9], 4, v[8:9]
	v_add_co_u32_e32 v8, vcc, s10, v8
	v_addc_co_u32_e32 v9, vcc, v10, v9, vcc
	global_load_dwordx4 v[8:11], v[8:9], off
	v_add_co_u32_e32 v26, vcc, s4, v4
	s_waitcnt vmcnt(0)
	v_mul_f64 v[12:13], v[6:7], v[10:11]
	v_fma_f64 v[12:13], v[18:19], v[8:9], v[12:13]
	v_mul_f64 v[18:19], v[18:19], v[10:11]
	v_fma_f64 v[18:19], v[6:7], v[8:9], -v[18:19]
	v_mul_f64 v[6:7], v[20:21], v[10:11]
	v_fma_f64 v[24:25], v[14:15], v[8:9], v[6:7]
	v_mul_f64 v[6:7], v[14:15], v[10:11]
	v_fma_f64 v[20:21], v[20:21], v[8:9], -v[6:7]
	v_mov_b32_e32 v6, s5
	v_addc_co_u32_e32 v27, vcc, v5, v6, vcc
	global_load_dwordx4 v[6:9], v[26:27], off
	s_waitcnt vmcnt(0)
	v_add_f64 v[6:7], v[6:7], v[12:13]
	global_load_dwordx4 v[10:13], v[4:5], off offset:512
	v_add_f64 v[8:9], v[18:19], v[8:9]
	s_waitcnt vmcnt(0)
	v_add_f64 v[10:11], v[10:11], v[16:17]
	global_load_dwordx4 v[14:17], v[26:27], off offset:512
	v_add_f64 v[12:13], v[22:23], v[12:13]
	s_waitcnt vmcnt(0)
	v_add_f64 v[14:15], v[14:15], v[24:25]
	v_add_f64 v[16:17], v[20:21], v[16:17]
	global_store_dwordx4 v[4:5], v[0:3], off
	global_store_dwordx4 v[26:27], v[6:9], off
	global_store_dwordx4 v[4:5], v[10:13], off offset:512
	global_store_dwordx4 v[26:27], v[14:17], off offset:512
.LBB31_6:
	s_endpgm
	.section	.rodata,"a",@progbits
	.p2align	6, 0x0
	.amdhsa_kernel _ZL34rocblas_ger_double_buffered_kernelILb1ELi64ELi16ELi2E19rocblas_complex_numIdE24rocblas_internal_val_ptrIS1_EPKS1_PS1_EvbiiT4_lT5_lllS8_lllT6_lmli
		.amdhsa_group_segment_fixed_size 0
		.amdhsa_private_segment_fixed_size 0
		.amdhsa_kernarg_size 140
		.amdhsa_user_sgpr_count 6
		.amdhsa_user_sgpr_private_segment_buffer 1
		.amdhsa_user_sgpr_dispatch_ptr 0
		.amdhsa_user_sgpr_queue_ptr 0
		.amdhsa_user_sgpr_kernarg_segment_ptr 1
		.amdhsa_user_sgpr_dispatch_id 0
		.amdhsa_user_sgpr_flat_scratch_init 0
		.amdhsa_user_sgpr_private_segment_size 0
		.amdhsa_uses_dynamic_stack 0
		.amdhsa_system_sgpr_private_segment_wavefront_offset 0
		.amdhsa_system_sgpr_workgroup_id_x 1
		.amdhsa_system_sgpr_workgroup_id_y 1
		.amdhsa_system_sgpr_workgroup_id_z 1
		.amdhsa_system_sgpr_workgroup_info 0
		.amdhsa_system_vgpr_workitem_id 1
		.amdhsa_next_free_vgpr 28
		.amdhsa_next_free_sgpr 36
		.amdhsa_reserve_vcc 1
		.amdhsa_reserve_flat_scratch 0
		.amdhsa_float_round_mode_32 0
		.amdhsa_float_round_mode_16_64 0
		.amdhsa_float_denorm_mode_32 3
		.amdhsa_float_denorm_mode_16_64 3
		.amdhsa_dx10_clamp 1
		.amdhsa_ieee_mode 1
		.amdhsa_fp16_overflow 0
		.amdhsa_exception_fp_ieee_invalid_op 0
		.amdhsa_exception_fp_denorm_src 0
		.amdhsa_exception_fp_ieee_div_zero 0
		.amdhsa_exception_fp_ieee_overflow 0
		.amdhsa_exception_fp_ieee_underflow 0
		.amdhsa_exception_fp_ieee_inexact 0
		.amdhsa_exception_int_div_zero 0
	.end_amdhsa_kernel
	.section	.text._ZL34rocblas_ger_double_buffered_kernelILb1ELi64ELi16ELi2E19rocblas_complex_numIdE24rocblas_internal_val_ptrIS1_EPKS1_PS1_EvbiiT4_lT5_lllS8_lllT6_lmli,"axG",@progbits,_ZL34rocblas_ger_double_buffered_kernelILb1ELi64ELi16ELi2E19rocblas_complex_numIdE24rocblas_internal_val_ptrIS1_EPKS1_PS1_EvbiiT4_lT5_lllS8_lllT6_lmli,comdat
.Lfunc_end31:
	.size	_ZL34rocblas_ger_double_buffered_kernelILb1ELi64ELi16ELi2E19rocblas_complex_numIdE24rocblas_internal_val_ptrIS1_EPKS1_PS1_EvbiiT4_lT5_lllS8_lllT6_lmli, .Lfunc_end31-_ZL34rocblas_ger_double_buffered_kernelILb1ELi64ELi16ELi2E19rocblas_complex_numIdE24rocblas_internal_val_ptrIS1_EPKS1_PS1_EvbiiT4_lT5_lllS8_lllT6_lmli
                                        ; -- End function
	.set _ZL34rocblas_ger_double_buffered_kernelILb1ELi64ELi16ELi2E19rocblas_complex_numIdE24rocblas_internal_val_ptrIS1_EPKS1_PS1_EvbiiT4_lT5_lllS8_lllT6_lmli.num_vgpr, 28
	.set _ZL34rocblas_ger_double_buffered_kernelILb1ELi64ELi16ELi2E19rocblas_complex_numIdE24rocblas_internal_val_ptrIS1_EPKS1_PS1_EvbiiT4_lT5_lllS8_lllT6_lmli.num_agpr, 0
	.set _ZL34rocblas_ger_double_buffered_kernelILb1ELi64ELi16ELi2E19rocblas_complex_numIdE24rocblas_internal_val_ptrIS1_EPKS1_PS1_EvbiiT4_lT5_lllS8_lllT6_lmli.numbered_sgpr, 36
	.set _ZL34rocblas_ger_double_buffered_kernelILb1ELi64ELi16ELi2E19rocblas_complex_numIdE24rocblas_internal_val_ptrIS1_EPKS1_PS1_EvbiiT4_lT5_lllS8_lllT6_lmli.num_named_barrier, 0
	.set _ZL34rocblas_ger_double_buffered_kernelILb1ELi64ELi16ELi2E19rocblas_complex_numIdE24rocblas_internal_val_ptrIS1_EPKS1_PS1_EvbiiT4_lT5_lllS8_lllT6_lmli.private_seg_size, 0
	.set _ZL34rocblas_ger_double_buffered_kernelILb1ELi64ELi16ELi2E19rocblas_complex_numIdE24rocblas_internal_val_ptrIS1_EPKS1_PS1_EvbiiT4_lT5_lllS8_lllT6_lmli.uses_vcc, 1
	.set _ZL34rocblas_ger_double_buffered_kernelILb1ELi64ELi16ELi2E19rocblas_complex_numIdE24rocblas_internal_val_ptrIS1_EPKS1_PS1_EvbiiT4_lT5_lllS8_lllT6_lmli.uses_flat_scratch, 0
	.set _ZL34rocblas_ger_double_buffered_kernelILb1ELi64ELi16ELi2E19rocblas_complex_numIdE24rocblas_internal_val_ptrIS1_EPKS1_PS1_EvbiiT4_lT5_lllS8_lllT6_lmli.has_dyn_sized_stack, 0
	.set _ZL34rocblas_ger_double_buffered_kernelILb1ELi64ELi16ELi2E19rocblas_complex_numIdE24rocblas_internal_val_ptrIS1_EPKS1_PS1_EvbiiT4_lT5_lllS8_lllT6_lmli.has_recursion, 0
	.set _ZL34rocblas_ger_double_buffered_kernelILb1ELi64ELi16ELi2E19rocblas_complex_numIdE24rocblas_internal_val_ptrIS1_EPKS1_PS1_EvbiiT4_lT5_lllS8_lllT6_lmli.has_indirect_call, 0
	.section	.AMDGPU.csdata,"",@progbits
; Kernel info:
; codeLenInByte = 1072
; TotalNumSgprs: 40
; NumVgprs: 28
; ScratchSize: 0
; MemoryBound: 0
; FloatMode: 240
; IeeeMode: 1
; LDSByteSize: 0 bytes/workgroup (compile time only)
; SGPRBlocks: 4
; VGPRBlocks: 6
; NumSGPRsForWavesPerEU: 40
; NumVGPRsForWavesPerEU: 28
; Occupancy: 9
; WaveLimiterHint : 0
; COMPUTE_PGM_RSRC2:SCRATCH_EN: 0
; COMPUTE_PGM_RSRC2:USER_SGPR: 6
; COMPUTE_PGM_RSRC2:TRAP_HANDLER: 0
; COMPUTE_PGM_RSRC2:TGID_X_EN: 1
; COMPUTE_PGM_RSRC2:TGID_Y_EN: 1
; COMPUTE_PGM_RSRC2:TGID_Z_EN: 1
; COMPUTE_PGM_RSRC2:TIDIG_COMP_CNT: 1
	.section	.text._ZL18rocblas_ger_kernelILi32ELi32ELi2ELb1E19rocblas_complex_numIdEPKS1_S3_PS1_EviiT4_lT5_lllS6_lllT6_lmli,"axG",@progbits,_ZL18rocblas_ger_kernelILi32ELi32ELi2ELb1E19rocblas_complex_numIdEPKS1_S3_PS1_EviiT4_lT5_lllS6_lllT6_lmli,comdat
	.globl	_ZL18rocblas_ger_kernelILi32ELi32ELi2ELb1E19rocblas_complex_numIdEPKS1_S3_PS1_EviiT4_lT5_lllS6_lllT6_lmli ; -- Begin function _ZL18rocblas_ger_kernelILi32ELi32ELi2ELb1E19rocblas_complex_numIdEPKS1_S3_PS1_EviiT4_lT5_lllS6_lllT6_lmli
	.p2align	8
	.type	_ZL18rocblas_ger_kernelILi32ELi32ELi2ELb1E19rocblas_complex_numIdEPKS1_S3_PS1_EviiT4_lT5_lllS6_lllT6_lmli,@function
_ZL18rocblas_ger_kernelILi32ELi32ELi2ELb1E19rocblas_complex_numIdEPKS1_S3_PS1_EviiT4_lT5_lllS6_lllT6_lmli: ; @_ZL18rocblas_ger_kernelILi32ELi32ELi2ELb1E19rocblas_complex_numIdEPKS1_S3_PS1_EviiT4_lT5_lllS6_lllT6_lmli
; %bb.0:
	s_load_dwordx2 s[12:13], s[4:5], 0x0
	s_load_dwordx4 s[0:3], s[4:5], 0x8
	s_waitcnt lgkmcnt(0)
	s_add_i32 s8, s12, -1
	s_ashr_i32 s9, s8, 31
	s_lshr_b32 s9, s9, 27
	s_add_i32 s8, s8, s9
	s_ashr_i32 s11, s8, 5
	s_mul_i32 s3, s3, s7
	s_mul_hi_u32 s8, s2, s7
	s_add_i32 s3, s8, s3
	s_mul_i32 s2, s2, s7
	s_add_i32 s10, s11, 1
	s_lshl_b64 s[2:3], s[2:3], 4
	s_add_u32 s8, s0, s2
	s_addc_u32 s9, s1, s3
	s_load_dwordx4 s[0:3], s[8:9], 0x0
	v_cvt_f32_u32_e32 v2, s10
	s_waitcnt lgkmcnt(0)
	v_cmp_neq_f64_e64 s[8:9], s[0:1], 0
	v_cmp_neq_f64_e64 s[14:15], s[2:3], 0
	v_rcp_iflag_f32_e32 v2, v2
	v_mul_f32_e32 v2, 0x4f7ffffe, v2
	v_cvt_u32_f32_e32 v2, v2
	s_or_b64 s[8:9], s[8:9], s[14:15]
	s_andn2_b64 vcc, exec, s[8:9]
	v_readfirstlane_b32 s16, v2
	s_cbranch_vccnz .LBB32_14
; %bb.1:
	s_not_b32 s11, s11
	s_mul_i32 s11, s11, s16
	s_mul_hi_u32 s11, s16, s11
	s_add_i32 s16, s16, s11
	s_mul_hi_u32 s11, s6, s16
	s_mul_i32 s16, s11, s10
	s_sub_i32 s16, s6, s16
	s_add_i32 s17, s11, 1
	s_sub_i32 s18, s16, s10
	s_cmp_ge_u32 s16, s10
	s_cselect_b32 s11, s17, s11
	s_cselect_b32 s16, s18, s16
	s_add_i32 s17, s11, 1
	s_load_dwordx2 s[14:15], s[4:5], 0x58
	s_load_dwordx2 s[8:9], s[4:5], 0x38
	s_cmp_ge_u32 s16, s10
	s_cselect_b32 s18, s17, s11
	s_mul_i32 s10, s18, s10
	s_sub_i32 s6, s6, s10
	v_lshl_add_u32 v6, s6, 5, v0
	v_cmp_eq_u32_e32 vcc, 0, v1
	s_and_saveexec_b64 s[10:11], vcc
	s_cbranch_execz .LBB32_5
; %bb.2:
	v_mov_b32_e32 v2, 0
	v_mov_b32_e32 v4, 0
	v_mov_b32_e32 v3, 0
	v_mov_b32_e32 v5, 0
	v_cmp_gt_i32_e32 vcc, s12, v6
	s_and_saveexec_b64 s[16:17], vcc
	s_cbranch_execz .LBB32_4
; %bb.3:
	s_load_dwordx2 s[24:25], s[4:5], 0x30
	s_load_dwordx2 s[26:27], s[4:5], 0x18
	s_load_dwordx4 s[20:23], s[4:5], 0x20
	v_ashrrev_i32_e32 v2, 31, v6
	s_waitcnt lgkmcnt(0)
	s_mul_i32 s6, s25, s7
	s_mul_hi_u32 s19, s24, s7
	v_mul_lo_u32 v4, s23, v6
	v_mul_lo_u32 v5, s22, v2
	v_mad_u64_u32 v[2:3], s[22:23], s22, v6, 0
	s_mul_i32 s24, s24, s7
	s_add_i32 s25, s19, s6
	s_lshl_b64 s[24:25], s[24:25], 4
	s_add_u32 s6, s26, s24
	s_addc_u32 s19, s27, s25
	s_lshl_b64 s[20:21], s[20:21], 4
	v_add3_u32 v3, v3, v5, v4
	s_add_u32 s6, s6, s20
	v_lshlrev_b64 v[2:3], 4, v[2:3]
	s_addc_u32 s19, s19, s21
	v_mov_b32_e32 v4, s19
	v_add_co_u32_e32 v2, vcc, s6, v2
	v_addc_co_u32_e32 v3, vcc, v4, v3, vcc
	global_load_dwordx4 v[2:5], v[2:3], off
.LBB32_4:
	s_or_b64 exec, exec, s[16:17]
	v_lshlrev_b32_e32 v7, 4, v0
	s_waitcnt vmcnt(0)
	ds_write_b128 v7, v[2:5] offset:1024
.LBB32_5:
	s_or_b64 exec, exec, s[10:11]
	v_lshlrev_b32_e32 v7, 1, v1
	v_lshl_add_u32 v5, s18, 6, v7
	v_cmp_gt_u32_e32 vcc, 2, v0
	s_and_saveexec_b64 s[10:11], vcc
	s_cbranch_execz .LBB32_9
; %bb.6:
	v_or_b32_e32 v8, v5, v0
	v_mov_b32_e32 v1, 0
	v_mov_b32_e32 v3, 0
	;; [unrolled: 1-line block ×4, first 2 shown]
	v_cmp_gt_u32_e32 vcc, s13, v8
	s_and_saveexec_b64 s[16:17], vcc
	s_cbranch_execz .LBB32_8
; %bb.7:
	s_load_dwordx2 s[18:19], s[4:5], 0x50
	s_load_dwordx4 s[20:23], s[4:5], 0x40
	s_waitcnt lgkmcnt(0)
	s_mul_i32 s6, s19, s7
	s_mul_hi_u32 s19, s18, s7
	v_mad_u64_u32 v[1:2], s[24:25], s22, v8, 0
	s_mul_i32 s18, s18, s7
	s_add_i32 s19, s19, s6
	s_lshl_b64 s[18:19], s[18:19], 4
	s_add_u32 s6, s8, s18
	s_addc_u32 s18, s9, s19
	v_mad_u64_u32 v[2:3], s[8:9], s23, v8, v[2:3]
	s_lshl_b64 s[8:9], s[20:21], 4
	s_add_u32 s6, s6, s8
	v_lshlrev_b64 v[1:2], 4, v[1:2]
	s_addc_u32 s8, s18, s9
	v_mov_b32_e32 v3, s8
	v_add_co_u32_e32 v1, vcc, s6, v1
	v_addc_co_u32_e32 v2, vcc, v3, v2, vcc
	global_load_dwordx4 v[1:4], v[1:2], off
.LBB32_8:
	s_or_b64 exec, exec, s[16:17]
	v_lshlrev_b32_e32 v8, 4, v0
	v_lshl_add_u32 v8, v7, 4, v8
	s_waitcnt vmcnt(0)
	ds_write_b128 v8, v[1:4]
.LBB32_9:
	s_or_b64 exec, exec, s[10:11]
	v_cmp_gt_i32_e32 vcc, s12, v6
	s_waitcnt lgkmcnt(0)
	s_barrier
	s_and_saveexec_b64 s[8:9], vcc
	s_cbranch_execz .LBB32_14
; %bb.10:
	v_lshlrev_b32_e32 v0, 4, v0
	s_load_dwordx2 s[16:17], s[4:5], 0x70
	s_load_dwordx4 s[8:11], s[4:5], 0x60
	ds_read_b128 v[8:11], v0 offset:1024
	v_lshlrev_b32_e32 v4, 4, v7
	v_ashrrev_i32_e32 v7, 31, v6
	s_waitcnt lgkmcnt(0)
	s_mul_i32 s4, s17, s7
	s_mul_hi_u32 s5, s16, s7
	v_mul_f64 v[0:1], s[2:3], v[10:11]
	v_mul_f64 v[2:3], s[0:1], v[10:11]
	s_add_i32 s5, s5, s4
	s_mul_i32 s4, s16, s7
	s_lshl_b64 s[4:5], s[4:5], 4
	s_add_u32 s6, s14, s4
	s_addc_u32 s7, s15, s5
	s_lshl_b64 s[4:5], s[8:9], 4
	v_fma_f64 v[0:1], s[0:1], v[8:9], -v[0:1]
	v_fma_f64 v[2:3], s[2:3], v[8:9], v[2:3]
	s_add_u32 s4, s6, s4
	v_lshlrev_b64 v[6:7], 4, v[6:7]
	s_addc_u32 s5, s7, s5
	v_mov_b32_e32 v8, s5
	v_add_co_u32_e32 v6, vcc, s4, v6
	v_addc_co_u32_e32 v7, vcc, v8, v7, vcc
	v_cmp_gt_i32_e32 vcc, s13, v5
	s_and_saveexec_b64 s[0:1], vcc
	s_cbranch_execz .LBB32_12
; %bb.11:
	ds_read_b128 v[8:11], v4
	v_ashrrev_i32_e32 v16, 31, v5
	v_mul_lo_u32 v17, s11, v5
	v_mad_u64_u32 v[12:13], s[2:3], s10, v5, 0
	v_mul_lo_u32 v16, s10, v16
	s_waitcnt lgkmcnt(0)
	v_mul_f64 v[14:15], v[2:3], v[10:11]
	v_mul_f64 v[10:11], v[0:1], v[10:11]
	v_add3_u32 v13, v13, v16, v17
	v_lshlrev_b64 v[12:13], 4, v[12:13]
	v_add_co_u32_e32 v12, vcc, v6, v12
	v_addc_co_u32_e32 v13, vcc, v7, v13, vcc
	v_fma_f64 v[14:15], v[0:1], v[8:9], v[14:15]
	v_fma_f64 v[16:17], v[2:3], v[8:9], -v[10:11]
	global_load_dwordx4 v[8:11], v[12:13], off
	s_waitcnt vmcnt(0)
	v_add_f64 v[8:9], v[8:9], v[14:15]
	v_add_f64 v[10:11], v[16:17], v[10:11]
	global_store_dwordx4 v[12:13], v[8:11], off
.LBB32_12:
	s_or_b64 exec, exec, s[0:1]
	v_or_b32_e32 v5, 1, v5
	v_cmp_gt_i32_e32 vcc, s13, v5
	s_and_b64 exec, exec, vcc
	s_cbranch_execz .LBB32_14
; %bb.13:
	v_ashrrev_i32_e32 v10, 31, v5
	v_mul_lo_u32 v11, s11, v5
	v_mad_u64_u32 v[8:9], s[0:1], s10, v5, 0
	v_mul_lo_u32 v5, s10, v10
	v_add3_u32 v9, v9, v5, v11
	v_lshlrev_b64 v[8:9], 4, v[8:9]
	v_add_co_u32_e32 v13, vcc, v6, v8
	v_addc_co_u32_e32 v14, vcc, v7, v9, vcc
	global_load_dwordx4 v[5:8], v[13:14], off
	ds_read_b128 v[9:12], v4 offset:16
	s_waitcnt lgkmcnt(0)
	v_mul_f64 v[15:16], v[2:3], v[11:12]
	v_mul_f64 v[11:12], v[0:1], v[11:12]
	v_fma_f64 v[0:1], v[0:1], v[9:10], v[15:16]
	v_fma_f64 v[2:3], v[2:3], v[9:10], -v[11:12]
	s_waitcnt vmcnt(0)
	v_add_f64 v[0:1], v[5:6], v[0:1]
	v_add_f64 v[2:3], v[2:3], v[7:8]
	global_store_dwordx4 v[13:14], v[0:3], off
.LBB32_14:
	s_endpgm
	.section	.rodata,"a",@progbits
	.p2align	6, 0x0
	.amdhsa_kernel _ZL18rocblas_ger_kernelILi32ELi32ELi2ELb1E19rocblas_complex_numIdEPKS1_S3_PS1_EviiT4_lT5_lllS6_lllT6_lmli
		.amdhsa_group_segment_fixed_size 1536
		.amdhsa_private_segment_fixed_size 0
		.amdhsa_kernarg_size 124
		.amdhsa_user_sgpr_count 6
		.amdhsa_user_sgpr_private_segment_buffer 1
		.amdhsa_user_sgpr_dispatch_ptr 0
		.amdhsa_user_sgpr_queue_ptr 0
		.amdhsa_user_sgpr_kernarg_segment_ptr 1
		.amdhsa_user_sgpr_dispatch_id 0
		.amdhsa_user_sgpr_flat_scratch_init 0
		.amdhsa_user_sgpr_private_segment_size 0
		.amdhsa_uses_dynamic_stack 0
		.amdhsa_system_sgpr_private_segment_wavefront_offset 0
		.amdhsa_system_sgpr_workgroup_id_x 1
		.amdhsa_system_sgpr_workgroup_id_y 0
		.amdhsa_system_sgpr_workgroup_id_z 1
		.amdhsa_system_sgpr_workgroup_info 0
		.amdhsa_system_vgpr_workitem_id 1
		.amdhsa_next_free_vgpr 18
		.amdhsa_next_free_sgpr 28
		.amdhsa_reserve_vcc 1
		.amdhsa_reserve_flat_scratch 0
		.amdhsa_float_round_mode_32 0
		.amdhsa_float_round_mode_16_64 0
		.amdhsa_float_denorm_mode_32 3
		.amdhsa_float_denorm_mode_16_64 3
		.amdhsa_dx10_clamp 1
		.amdhsa_ieee_mode 1
		.amdhsa_fp16_overflow 0
		.amdhsa_exception_fp_ieee_invalid_op 0
		.amdhsa_exception_fp_denorm_src 0
		.amdhsa_exception_fp_ieee_div_zero 0
		.amdhsa_exception_fp_ieee_overflow 0
		.amdhsa_exception_fp_ieee_underflow 0
		.amdhsa_exception_fp_ieee_inexact 0
		.amdhsa_exception_int_div_zero 0
	.end_amdhsa_kernel
	.section	.text._ZL18rocblas_ger_kernelILi32ELi32ELi2ELb1E19rocblas_complex_numIdEPKS1_S3_PS1_EviiT4_lT5_lllS6_lllT6_lmli,"axG",@progbits,_ZL18rocblas_ger_kernelILi32ELi32ELi2ELb1E19rocblas_complex_numIdEPKS1_S3_PS1_EviiT4_lT5_lllS6_lllT6_lmli,comdat
.Lfunc_end32:
	.size	_ZL18rocblas_ger_kernelILi32ELi32ELi2ELb1E19rocblas_complex_numIdEPKS1_S3_PS1_EviiT4_lT5_lllS6_lllT6_lmli, .Lfunc_end32-_ZL18rocblas_ger_kernelILi32ELi32ELi2ELb1E19rocblas_complex_numIdEPKS1_S3_PS1_EviiT4_lT5_lllS6_lllT6_lmli
                                        ; -- End function
	.set _ZL18rocblas_ger_kernelILi32ELi32ELi2ELb1E19rocblas_complex_numIdEPKS1_S3_PS1_EviiT4_lT5_lllS6_lllT6_lmli.num_vgpr, 18
	.set _ZL18rocblas_ger_kernelILi32ELi32ELi2ELb1E19rocblas_complex_numIdEPKS1_S3_PS1_EviiT4_lT5_lllS6_lllT6_lmli.num_agpr, 0
	.set _ZL18rocblas_ger_kernelILi32ELi32ELi2ELb1E19rocblas_complex_numIdEPKS1_S3_PS1_EviiT4_lT5_lllS6_lllT6_lmli.numbered_sgpr, 28
	.set _ZL18rocblas_ger_kernelILi32ELi32ELi2ELb1E19rocblas_complex_numIdEPKS1_S3_PS1_EviiT4_lT5_lllS6_lllT6_lmli.num_named_barrier, 0
	.set _ZL18rocblas_ger_kernelILi32ELi32ELi2ELb1E19rocblas_complex_numIdEPKS1_S3_PS1_EviiT4_lT5_lllS6_lllT6_lmli.private_seg_size, 0
	.set _ZL18rocblas_ger_kernelILi32ELi32ELi2ELb1E19rocblas_complex_numIdEPKS1_S3_PS1_EviiT4_lT5_lllS6_lllT6_lmli.uses_vcc, 1
	.set _ZL18rocblas_ger_kernelILi32ELi32ELi2ELb1E19rocblas_complex_numIdEPKS1_S3_PS1_EviiT4_lT5_lllS6_lllT6_lmli.uses_flat_scratch, 0
	.set _ZL18rocblas_ger_kernelILi32ELi32ELi2ELb1E19rocblas_complex_numIdEPKS1_S3_PS1_EviiT4_lT5_lllS6_lllT6_lmli.has_dyn_sized_stack, 0
	.set _ZL18rocblas_ger_kernelILi32ELi32ELi2ELb1E19rocblas_complex_numIdEPKS1_S3_PS1_EviiT4_lT5_lllS6_lllT6_lmli.has_recursion, 0
	.set _ZL18rocblas_ger_kernelILi32ELi32ELi2ELb1E19rocblas_complex_numIdEPKS1_S3_PS1_EviiT4_lT5_lllS6_lllT6_lmli.has_indirect_call, 0
	.section	.AMDGPU.csdata,"",@progbits
; Kernel info:
; codeLenInByte = 1068
; TotalNumSgprs: 32
; NumVgprs: 18
; ScratchSize: 0
; MemoryBound: 0
; FloatMode: 240
; IeeeMode: 1
; LDSByteSize: 1536 bytes/workgroup (compile time only)
; SGPRBlocks: 3
; VGPRBlocks: 4
; NumSGPRsForWavesPerEU: 32
; NumVGPRsForWavesPerEU: 18
; Occupancy: 10
; WaveLimiterHint : 0
; COMPUTE_PGM_RSRC2:SCRATCH_EN: 0
; COMPUTE_PGM_RSRC2:USER_SGPR: 6
; COMPUTE_PGM_RSRC2:TRAP_HANDLER: 0
; COMPUTE_PGM_RSRC2:TGID_X_EN: 1
; COMPUTE_PGM_RSRC2:TGID_Y_EN: 0
; COMPUTE_PGM_RSRC2:TGID_Z_EN: 1
; COMPUTE_PGM_RSRC2:TIDIG_COMP_CNT: 1
	.section	.text._ZL18rocblas_ger_kernelILi32ELi32ELi2ELb1E19rocblas_complex_numIdES1_PKS1_PS1_EviiT4_lT5_lllS6_lllT6_lmli,"axG",@progbits,_ZL18rocblas_ger_kernelILi32ELi32ELi2ELb1E19rocblas_complex_numIdES1_PKS1_PS1_EviiT4_lT5_lllS6_lllT6_lmli,comdat
	.globl	_ZL18rocblas_ger_kernelILi32ELi32ELi2ELb1E19rocblas_complex_numIdES1_PKS1_PS1_EviiT4_lT5_lllS6_lllT6_lmli ; -- Begin function _ZL18rocblas_ger_kernelILi32ELi32ELi2ELb1E19rocblas_complex_numIdES1_PKS1_PS1_EviiT4_lT5_lllS6_lllT6_lmli
	.p2align	8
	.type	_ZL18rocblas_ger_kernelILi32ELi32ELi2ELb1E19rocblas_complex_numIdES1_PKS1_PS1_EviiT4_lT5_lllS6_lllT6_lmli,@function
_ZL18rocblas_ger_kernelILi32ELi32ELi2ELb1E19rocblas_complex_numIdES1_PKS1_PS1_EviiT4_lT5_lllS6_lllT6_lmli: ; @_ZL18rocblas_ger_kernelILi32ELi32ELi2ELb1E19rocblas_complex_numIdES1_PKS1_PS1_EviiT4_lT5_lllS6_lllT6_lmli
; %bb.0:
	s_load_dwordx2 s[12:13], s[4:5], 0x0
	s_load_dwordx4 s[0:3], s[4:5], 0x8
	s_waitcnt lgkmcnt(0)
	s_add_i32 s8, s12, -1
	s_ashr_i32 s9, s8, 31
	s_lshr_b32 s9, s9, 27
	s_add_i32 s8, s8, s9
	s_ashr_i32 s11, s8, 5
	s_add_i32 s10, s11, 1
	v_cvt_f32_u32_e32 v2, s10
	v_cmp_neq_f64_e64 s[8:9], s[0:1], 0
	v_cmp_neq_f64_e64 s[14:15], s[2:3], 0
	v_rcp_iflag_f32_e32 v2, v2
	v_mul_f32_e32 v2, 0x4f7ffffe, v2
	v_cvt_u32_f32_e32 v2, v2
	s_or_b64 s[8:9], s[8:9], s[14:15]
	s_andn2_b64 vcc, exec, s[8:9]
	v_readfirstlane_b32 s16, v2
	s_cbranch_vccnz .LBB33_14
; %bb.1:
	s_not_b32 s11, s11
	s_mul_i32 s11, s11, s16
	s_mul_hi_u32 s11, s16, s11
	s_add_i32 s16, s16, s11
	s_mul_hi_u32 s11, s6, s16
	s_mul_i32 s16, s11, s10
	s_sub_i32 s16, s6, s16
	s_add_i32 s17, s11, 1
	s_sub_i32 s18, s16, s10
	s_cmp_ge_u32 s16, s10
	s_cselect_b32 s11, s17, s11
	s_cselect_b32 s16, s18, s16
	s_add_i32 s17, s11, 1
	s_load_dwordx2 s[14:15], s[4:5], 0x60
	s_load_dwordx2 s[8:9], s[4:5], 0x40
	s_cmp_ge_u32 s16, s10
	s_cselect_b32 s18, s17, s11
	s_mul_i32 s10, s18, s10
	s_sub_i32 s6, s6, s10
	v_lshl_add_u32 v6, s6, 5, v0
	v_cmp_eq_u32_e32 vcc, 0, v1
	s_and_saveexec_b64 s[10:11], vcc
	s_cbranch_execz .LBB33_5
; %bb.2:
	v_mov_b32_e32 v2, 0
	v_mov_b32_e32 v4, 0
	;; [unrolled: 1-line block ×4, first 2 shown]
	v_cmp_gt_i32_e32 vcc, s12, v6
	s_and_saveexec_b64 s[16:17], vcc
	s_cbranch_execz .LBB33_4
; %bb.3:
	s_load_dwordx2 s[24:25], s[4:5], 0x38
	s_load_dwordx2 s[26:27], s[4:5], 0x20
	s_load_dwordx4 s[20:23], s[4:5], 0x28
	v_ashrrev_i32_e32 v2, 31, v6
	s_waitcnt lgkmcnt(0)
	s_mul_i32 s6, s25, s7
	s_mul_hi_u32 s19, s24, s7
	v_mul_lo_u32 v4, s23, v6
	v_mul_lo_u32 v5, s22, v2
	v_mad_u64_u32 v[2:3], s[22:23], s22, v6, 0
	s_mul_i32 s24, s24, s7
	s_add_i32 s25, s19, s6
	s_lshl_b64 s[24:25], s[24:25], 4
	s_add_u32 s6, s26, s24
	s_addc_u32 s19, s27, s25
	s_lshl_b64 s[20:21], s[20:21], 4
	v_add3_u32 v3, v3, v5, v4
	s_add_u32 s6, s6, s20
	v_lshlrev_b64 v[2:3], 4, v[2:3]
	s_addc_u32 s19, s19, s21
	v_mov_b32_e32 v4, s19
	v_add_co_u32_e32 v2, vcc, s6, v2
	v_addc_co_u32_e32 v3, vcc, v4, v3, vcc
	global_load_dwordx4 v[2:5], v[2:3], off
.LBB33_4:
	s_or_b64 exec, exec, s[16:17]
	v_lshlrev_b32_e32 v7, 4, v0
	s_waitcnt vmcnt(0)
	ds_write_b128 v7, v[2:5] offset:1024
.LBB33_5:
	s_or_b64 exec, exec, s[10:11]
	v_lshlrev_b32_e32 v7, 1, v1
	v_lshl_add_u32 v5, s18, 6, v7
	v_cmp_gt_u32_e32 vcc, 2, v0
	s_and_saveexec_b64 s[10:11], vcc
	s_cbranch_execz .LBB33_9
; %bb.6:
	v_or_b32_e32 v8, v5, v0
	v_mov_b32_e32 v1, 0
	v_mov_b32_e32 v3, 0
	;; [unrolled: 1-line block ×4, first 2 shown]
	v_cmp_gt_u32_e32 vcc, s13, v8
	s_and_saveexec_b64 s[16:17], vcc
	s_cbranch_execz .LBB33_8
; %bb.7:
	s_load_dwordx2 s[18:19], s[4:5], 0x58
	s_load_dwordx4 s[20:23], s[4:5], 0x48
	s_waitcnt lgkmcnt(0)
	s_mul_i32 s6, s19, s7
	s_mul_hi_u32 s19, s18, s7
	v_mad_u64_u32 v[1:2], s[24:25], s22, v8, 0
	s_mul_i32 s18, s18, s7
	s_add_i32 s19, s19, s6
	s_lshl_b64 s[18:19], s[18:19], 4
	s_add_u32 s6, s8, s18
	s_addc_u32 s18, s9, s19
	v_mad_u64_u32 v[2:3], s[8:9], s23, v8, v[2:3]
	s_lshl_b64 s[8:9], s[20:21], 4
	s_add_u32 s6, s6, s8
	v_lshlrev_b64 v[1:2], 4, v[1:2]
	s_addc_u32 s8, s18, s9
	v_mov_b32_e32 v3, s8
	v_add_co_u32_e32 v1, vcc, s6, v1
	v_addc_co_u32_e32 v2, vcc, v3, v2, vcc
	global_load_dwordx4 v[1:4], v[1:2], off
.LBB33_8:
	s_or_b64 exec, exec, s[16:17]
	v_lshlrev_b32_e32 v8, 4, v0
	v_lshl_add_u32 v8, v7, 4, v8
	s_waitcnt vmcnt(0)
	ds_write_b128 v8, v[1:4]
.LBB33_9:
	s_or_b64 exec, exec, s[10:11]
	v_cmp_gt_i32_e32 vcc, s12, v6
	s_waitcnt lgkmcnt(0)
	s_barrier
	s_and_saveexec_b64 s[8:9], vcc
	s_cbranch_execz .LBB33_14
; %bb.10:
	v_lshlrev_b32_e32 v0, 4, v0
	s_load_dwordx2 s[16:17], s[4:5], 0x78
	s_load_dwordx4 s[8:11], s[4:5], 0x68
	ds_read_b128 v[8:11], v0 offset:1024
	v_lshlrev_b32_e32 v4, 4, v7
	v_ashrrev_i32_e32 v7, 31, v6
	s_waitcnt lgkmcnt(0)
	s_mul_i32 s4, s17, s7
	s_mul_hi_u32 s5, s16, s7
	v_mul_f64 v[0:1], s[2:3], v[10:11]
	v_mul_f64 v[2:3], s[0:1], v[10:11]
	s_add_i32 s5, s5, s4
	s_mul_i32 s4, s16, s7
	s_lshl_b64 s[4:5], s[4:5], 4
	s_add_u32 s6, s14, s4
	s_addc_u32 s7, s15, s5
	s_lshl_b64 s[4:5], s[8:9], 4
	v_fma_f64 v[0:1], s[0:1], v[8:9], -v[0:1]
	v_fma_f64 v[2:3], s[2:3], v[8:9], v[2:3]
	s_add_u32 s4, s6, s4
	v_lshlrev_b64 v[6:7], 4, v[6:7]
	s_addc_u32 s5, s7, s5
	v_mov_b32_e32 v8, s5
	v_add_co_u32_e32 v6, vcc, s4, v6
	v_addc_co_u32_e32 v7, vcc, v8, v7, vcc
	v_cmp_gt_i32_e32 vcc, s13, v5
	s_and_saveexec_b64 s[0:1], vcc
	s_cbranch_execz .LBB33_12
; %bb.11:
	ds_read_b128 v[8:11], v4
	v_ashrrev_i32_e32 v16, 31, v5
	v_mul_lo_u32 v17, s11, v5
	v_mad_u64_u32 v[12:13], s[2:3], s10, v5, 0
	v_mul_lo_u32 v16, s10, v16
	s_waitcnt lgkmcnt(0)
	v_mul_f64 v[14:15], v[2:3], v[10:11]
	v_mul_f64 v[10:11], v[0:1], v[10:11]
	v_add3_u32 v13, v13, v16, v17
	v_lshlrev_b64 v[12:13], 4, v[12:13]
	v_add_co_u32_e32 v12, vcc, v6, v12
	v_addc_co_u32_e32 v13, vcc, v7, v13, vcc
	v_fma_f64 v[14:15], v[0:1], v[8:9], v[14:15]
	v_fma_f64 v[16:17], v[2:3], v[8:9], -v[10:11]
	global_load_dwordx4 v[8:11], v[12:13], off
	s_waitcnt vmcnt(0)
	v_add_f64 v[8:9], v[8:9], v[14:15]
	v_add_f64 v[10:11], v[16:17], v[10:11]
	global_store_dwordx4 v[12:13], v[8:11], off
.LBB33_12:
	s_or_b64 exec, exec, s[0:1]
	v_or_b32_e32 v5, 1, v5
	v_cmp_gt_i32_e32 vcc, s13, v5
	s_and_b64 exec, exec, vcc
	s_cbranch_execz .LBB33_14
; %bb.13:
	v_ashrrev_i32_e32 v10, 31, v5
	v_mul_lo_u32 v11, s11, v5
	v_mad_u64_u32 v[8:9], s[0:1], s10, v5, 0
	v_mul_lo_u32 v5, s10, v10
	v_add3_u32 v9, v9, v5, v11
	v_lshlrev_b64 v[8:9], 4, v[8:9]
	v_add_co_u32_e32 v13, vcc, v6, v8
	v_addc_co_u32_e32 v14, vcc, v7, v9, vcc
	global_load_dwordx4 v[5:8], v[13:14], off
	ds_read_b128 v[9:12], v4 offset:16
	s_waitcnt lgkmcnt(0)
	v_mul_f64 v[15:16], v[2:3], v[11:12]
	v_mul_f64 v[11:12], v[0:1], v[11:12]
	v_fma_f64 v[0:1], v[0:1], v[9:10], v[15:16]
	v_fma_f64 v[2:3], v[2:3], v[9:10], -v[11:12]
	s_waitcnt vmcnt(0)
	v_add_f64 v[0:1], v[5:6], v[0:1]
	v_add_f64 v[2:3], v[2:3], v[7:8]
	global_store_dwordx4 v[13:14], v[0:3], off
.LBB33_14:
	s_endpgm
	.section	.rodata,"a",@progbits
	.p2align	6, 0x0
	.amdhsa_kernel _ZL18rocblas_ger_kernelILi32ELi32ELi2ELb1E19rocblas_complex_numIdES1_PKS1_PS1_EviiT4_lT5_lllS6_lllT6_lmli
		.amdhsa_group_segment_fixed_size 1536
		.amdhsa_private_segment_fixed_size 0
		.amdhsa_kernarg_size 132
		.amdhsa_user_sgpr_count 6
		.amdhsa_user_sgpr_private_segment_buffer 1
		.amdhsa_user_sgpr_dispatch_ptr 0
		.amdhsa_user_sgpr_queue_ptr 0
		.amdhsa_user_sgpr_kernarg_segment_ptr 1
		.amdhsa_user_sgpr_dispatch_id 0
		.amdhsa_user_sgpr_flat_scratch_init 0
		.amdhsa_user_sgpr_private_segment_size 0
		.amdhsa_uses_dynamic_stack 0
		.amdhsa_system_sgpr_private_segment_wavefront_offset 0
		.amdhsa_system_sgpr_workgroup_id_x 1
		.amdhsa_system_sgpr_workgroup_id_y 0
		.amdhsa_system_sgpr_workgroup_id_z 1
		.amdhsa_system_sgpr_workgroup_info 0
		.amdhsa_system_vgpr_workitem_id 1
		.amdhsa_next_free_vgpr 18
		.amdhsa_next_free_sgpr 28
		.amdhsa_reserve_vcc 1
		.amdhsa_reserve_flat_scratch 0
		.amdhsa_float_round_mode_32 0
		.amdhsa_float_round_mode_16_64 0
		.amdhsa_float_denorm_mode_32 3
		.amdhsa_float_denorm_mode_16_64 3
		.amdhsa_dx10_clamp 1
		.amdhsa_ieee_mode 1
		.amdhsa_fp16_overflow 0
		.amdhsa_exception_fp_ieee_invalid_op 0
		.amdhsa_exception_fp_denorm_src 0
		.amdhsa_exception_fp_ieee_div_zero 0
		.amdhsa_exception_fp_ieee_overflow 0
		.amdhsa_exception_fp_ieee_underflow 0
		.amdhsa_exception_fp_ieee_inexact 0
		.amdhsa_exception_int_div_zero 0
	.end_amdhsa_kernel
	.section	.text._ZL18rocblas_ger_kernelILi32ELi32ELi2ELb1E19rocblas_complex_numIdES1_PKS1_PS1_EviiT4_lT5_lllS6_lllT6_lmli,"axG",@progbits,_ZL18rocblas_ger_kernelILi32ELi32ELi2ELb1E19rocblas_complex_numIdES1_PKS1_PS1_EviiT4_lT5_lllS6_lllT6_lmli,comdat
.Lfunc_end33:
	.size	_ZL18rocblas_ger_kernelILi32ELi32ELi2ELb1E19rocblas_complex_numIdES1_PKS1_PS1_EviiT4_lT5_lllS6_lllT6_lmli, .Lfunc_end33-_ZL18rocblas_ger_kernelILi32ELi32ELi2ELb1E19rocblas_complex_numIdES1_PKS1_PS1_EviiT4_lT5_lllS6_lllT6_lmli
                                        ; -- End function
	.set _ZL18rocblas_ger_kernelILi32ELi32ELi2ELb1E19rocblas_complex_numIdES1_PKS1_PS1_EviiT4_lT5_lllS6_lllT6_lmli.num_vgpr, 18
	.set _ZL18rocblas_ger_kernelILi32ELi32ELi2ELb1E19rocblas_complex_numIdES1_PKS1_PS1_EviiT4_lT5_lllS6_lllT6_lmli.num_agpr, 0
	.set _ZL18rocblas_ger_kernelILi32ELi32ELi2ELb1E19rocblas_complex_numIdES1_PKS1_PS1_EviiT4_lT5_lllS6_lllT6_lmli.numbered_sgpr, 28
	.set _ZL18rocblas_ger_kernelILi32ELi32ELi2ELb1E19rocblas_complex_numIdES1_PKS1_PS1_EviiT4_lT5_lllS6_lllT6_lmli.num_named_barrier, 0
	.set _ZL18rocblas_ger_kernelILi32ELi32ELi2ELb1E19rocblas_complex_numIdES1_PKS1_PS1_EviiT4_lT5_lllS6_lllT6_lmli.private_seg_size, 0
	.set _ZL18rocblas_ger_kernelILi32ELi32ELi2ELb1E19rocblas_complex_numIdES1_PKS1_PS1_EviiT4_lT5_lllS6_lllT6_lmli.uses_vcc, 1
	.set _ZL18rocblas_ger_kernelILi32ELi32ELi2ELb1E19rocblas_complex_numIdES1_PKS1_PS1_EviiT4_lT5_lllS6_lllT6_lmli.uses_flat_scratch, 0
	.set _ZL18rocblas_ger_kernelILi32ELi32ELi2ELb1E19rocblas_complex_numIdES1_PKS1_PS1_EviiT4_lT5_lllS6_lllT6_lmli.has_dyn_sized_stack, 0
	.set _ZL18rocblas_ger_kernelILi32ELi32ELi2ELb1E19rocblas_complex_numIdES1_PKS1_PS1_EviiT4_lT5_lllS6_lllT6_lmli.has_recursion, 0
	.set _ZL18rocblas_ger_kernelILi32ELi32ELi2ELb1E19rocblas_complex_numIdES1_PKS1_PS1_EviiT4_lT5_lllS6_lllT6_lmli.has_indirect_call, 0
	.section	.AMDGPU.csdata,"",@progbits
; Kernel info:
; codeLenInByte = 1028
; TotalNumSgprs: 32
; NumVgprs: 18
; ScratchSize: 0
; MemoryBound: 0
; FloatMode: 240
; IeeeMode: 1
; LDSByteSize: 1536 bytes/workgroup (compile time only)
; SGPRBlocks: 3
; VGPRBlocks: 4
; NumSGPRsForWavesPerEU: 32
; NumVGPRsForWavesPerEU: 18
; Occupancy: 10
; WaveLimiterHint : 0
; COMPUTE_PGM_RSRC2:SCRATCH_EN: 0
; COMPUTE_PGM_RSRC2:USER_SGPR: 6
; COMPUTE_PGM_RSRC2:TRAP_HANDLER: 0
; COMPUTE_PGM_RSRC2:TGID_X_EN: 1
; COMPUTE_PGM_RSRC2:TGID_Y_EN: 0
; COMPUTE_PGM_RSRC2:TGID_Z_EN: 1
; COMPUTE_PGM_RSRC2:TIDIG_COMP_CNT: 1
	.section	.text._ZL34rocblas_ger_double_buffered_kernelILb0ELi128ELi8ELi8Ef24rocblas_internal_val_ptrIfEPKPKfPKPfEvbiiT4_lT5_lllSA_lllT6_lmli,"axG",@progbits,_ZL34rocblas_ger_double_buffered_kernelILb0ELi128ELi8ELi8Ef24rocblas_internal_val_ptrIfEPKPKfPKPfEvbiiT4_lT5_lllSA_lllT6_lmli,comdat
	.globl	_ZL34rocblas_ger_double_buffered_kernelILb0ELi128ELi8ELi8Ef24rocblas_internal_val_ptrIfEPKPKfPKPfEvbiiT4_lT5_lllSA_lllT6_lmli ; -- Begin function _ZL34rocblas_ger_double_buffered_kernelILb0ELi128ELi8ELi8Ef24rocblas_internal_val_ptrIfEPKPKfPKPfEvbiiT4_lT5_lllSA_lllT6_lmli
	.p2align	8
	.type	_ZL34rocblas_ger_double_buffered_kernelILb0ELi128ELi8ELi8Ef24rocblas_internal_val_ptrIfEPKPKfPKPfEvbiiT4_lT5_lllSA_lllT6_lmli,@function
_ZL34rocblas_ger_double_buffered_kernelILb0ELi128ELi8ELi8Ef24rocblas_internal_val_ptrIfEPKPKfPKPfEvbiiT4_lT5_lllSA_lllT6_lmli: ; @_ZL34rocblas_ger_double_buffered_kernelILb0ELi128ELi8ELi8Ef24rocblas_internal_val_ptrIfEPKPKfPKPfEvbiiT4_lT5_lllSA_lllT6_lmli
; %bb.0:
	s_load_dword s9, s[4:5], 0x0
	s_load_dwordx4 s[0:3], s[4:5], 0x10
	s_waitcnt lgkmcnt(0)
	s_bitcmp0_b32 s9, 0
	s_cbranch_scc0 .LBB34_2
; %bb.1:
	s_mul_i32 s3, s3, s8
	s_mul_hi_u32 s9, s2, s8
	s_add_i32 s3, s9, s3
	s_mul_i32 s2, s2, s8
	s_lshl_b64 s[2:3], s[2:3], 2
	s_add_u32 s2, s0, s2
	s_addc_u32 s3, s1, s3
	s_load_dword s18, s[2:3], 0x0
	s_cbranch_execz .LBB34_3
	s_branch .LBB34_4
.LBB34_2:
                                        ; implicit-def: $sgpr18
.LBB34_3:
	s_waitcnt lgkmcnt(0)
	s_mov_b32 s18, s0
.LBB34_4:
	s_waitcnt lgkmcnt(0)
	v_cmp_eq_f32_e64 s[0:1], s18, 0
	s_mov_b32 s9, 0
	s_and_b64 vcc, exec, s[0:1]
	s_cbranch_vccnz .LBB34_6
; %bb.5:
	s_load_dwordx2 s[10:11], s[4:5], 0x60
	s_load_dwordx4 s[0:3], s[4:5], 0x68
	s_lshl_b64 s[16:17], s[8:9], 3
	v_and_b32_e32 v6, 63, v0
	v_lshl_add_u32 v2, v1, 7, v0
	s_waitcnt lgkmcnt(0)
	s_add_u32 s20, s10, s16
	s_addc_u32 s21, s11, s17
	s_load_dwordx2 s[22:23], s[20:21], 0x0
	s_load_dwordx2 s[24:25], s[4:5], 0x20
	s_load_dwordx4 s[12:15], s[4:5], 0x28
	s_load_dwordx2 s[26:27], s[4:5], 0x40
	s_load_dwordx4 s[8:11], s[4:5], 0x48
	s_lshl_b64 s[0:1], s[0:1], 2
	s_waitcnt lgkmcnt(0)
	s_add_u32 s19, s22, s0
	s_addc_u32 s20, s23, s1
	s_add_u32 s0, s26, s16
	s_addc_u32 s1, s27, s17
	;; [unrolled: 2-line block ×3, first 2 shown]
	s_load_dwordx2 s[4:5], s[4:5], 0x0
	v_or_b32_e32 v3, 64, v6
	s_load_dwordx2 s[16:17], s[0:1], 0x0
	s_lshl_b64 s[0:1], s[12:13], 2
	v_lshrrev_b32_e32 v18, 3, v2
	s_waitcnt lgkmcnt(0)
	s_add_u32 s12, s4, s0
	s_addc_u32 s13, s5, s1
	s_lshl_b32 s0, s6, 7
	s_ashr_i32 s1, s0, 31
	s_lshl_b64 s[4:5], s[0:1], 2
	s_add_u32 s6, s19, s4
	s_addc_u32 s20, s20, s5
	s_lshl_b32 s7, s7, 7
	s_ashr_i32 s21, s7, 31
	s_mul_i32 s4, s2, s21
	s_mul_hi_u32 s5, s2, s7
	s_add_i32 s4, s5, s4
	s_mul_i32 s5, s3, s7
	s_add_i32 s5, s4, s5
	s_mul_i32 s4, s2, s7
	s_lshl_b64 s[4:5], s[4:5], 2
	s_add_u32 s19, s6, s4
	s_mul_i32 s1, s14, s1
	s_mul_hi_u32 s4, s14, s0
	s_addc_u32 s20, s20, s5
	s_add_i32 s1, s4, s1
	s_mul_i32 s4, s15, s0
	s_add_i32 s1, s1, s4
	s_mul_i32 s0, s14, s0
	s_lshl_b64 s[0:1], s[0:1], 2
	s_add_u32 s4, s12, s0
	s_addc_u32 s5, s13, s1
	s_mul_i32 s0, s10, s21
	s_mul_hi_u32 s1, s10, s7
	s_add_i32 s0, s1, s0
	s_mul_i32 s1, s11, s7
	s_add_i32 s13, s0, s1
	v_mad_u64_u32 v[0:1], s[0:1], s14, v6, 0
	v_mad_u64_u32 v[4:5], s[0:1], s14, v3, 0
	;; [unrolled: 1-line block ×3, first 2 shown]
	v_mov_b32_e32 v2, v5
	v_mad_u64_u32 v[7:8], s[0:1], s15, v3, v[2:3]
	v_lshlrev_b64 v[0:1], 2, v[0:1]
	v_mov_b32_e32 v9, s5
	v_add_co_u32_e32 v2, vcc, s4, v0
	v_mov_b32_e32 v5, v7
	v_addc_co_u32_e32 v3, vcc, v9, v1, vcc
	v_lshlrev_b64 v[0:1], 2, v[4:5]
	s_mul_i32 s12, s10, s7
	v_mov_b32_e32 v4, s5
	v_add_co_u32_e32 v0, vcc, s4, v0
	s_lshl_b64 s[4:5], s[2:3], 2
	s_lshl_b64 s[6:7], s[2:3], 3
	;; [unrolled: 1-line block ×4, first 2 shown]
	v_and_b32_e32 v19, 0x7ff8, v18
	s_add_u32 s14, s16, s8
	v_addc_co_u32_e32 v1, vcc, v4, v1, vcc
	s_addc_u32 s15, s17, s9
	v_mad_u64_u32 v[4:5], s[8:9], s10, v19, 0
	flat_load_dword v31, v[2:3]
	s_lshl_b64 s[8:9], s[12:13], 2
	v_mad_u64_u32 v[7:8], s[12:13], s11, v19, v[5:6]
	v_or_b32_e32 v10, 1, v19
	v_mad_u64_u32 v[8:9], s[12:13], s10, v10, 0
	v_mov_b32_e32 v5, v7
	v_or_b32_e32 v14, 2, v19
	v_mov_b32_e32 v7, v9
	v_mad_u64_u32 v[9:10], s[12:13], s11, v10, v[7:8]
	s_add_u32 s8, s14, s8
	v_lshlrev_b64 v[4:5], 2, v[4:5]
	v_mad_u64_u32 v[12:13], s[12:13], s10, v14, 0
	s_addc_u32 s9, s15, s9
	v_mov_b32_e32 v11, s9
	v_add_co_u32_e32 v4, vcc, s8, v4
	v_lshlrev_b64 v[7:8], 2, v[8:9]
	v_addc_co_u32_e32 v5, vcc, v11, v5, vcc
	v_mov_b32_e32 v9, s9
	v_add_co_u32_e32 v10, vcc, s8, v7
	v_mov_b32_e32 v7, v13
	v_addc_co_u32_e32 v11, vcc, v9, v8, vcc
	v_mad_u64_u32 v[7:8], s[12:13], s11, v14, v[7:8]
	v_or_b32_e32 v14, 3, v19
	v_mad_u64_u32 v[8:9], s[12:13], s10, v14, 0
	v_mov_b32_e32 v13, v7
	v_lshlrev_b64 v[12:13], 2, v[12:13]
	v_mov_b32_e32 v7, v9
	v_mad_u64_u32 v[14:15], s[12:13], s11, v14, v[7:8]
	v_mov_b32_e32 v16, s9
	v_add_co_u32_e32 v12, vcc, s8, v12
	v_mov_b32_e32 v9, v14
	v_lshlrev_b64 v[7:8], 2, v[8:9]
	v_addc_co_u32_e32 v13, vcc, v16, v13, vcc
	v_or_b32_e32 v15, 4, v19
	v_mad_u64_u32 v[20:21], s[12:13], s10, v15, 0
	v_mov_b32_e32 v17, s9
	v_add_co_u32_e32 v16, vcc, s8, v7
	v_addc_co_u32_e32 v17, vcc, v17, v8, vcc
	v_mad_u64_u32 v[7:8], s[12:13], s2, v19, 0
	v_mov_b32_e32 v9, v21
	v_mad_u64_u32 v[14:15], s[12:13], s11, v15, v[9:10]
	v_mad_u64_u32 v[8:9], s[12:13], s3, v19, v[8:9]
	v_mov_b32_e32 v9, s20
	v_mov_b32_e32 v21, v14
	v_lshlrev_b64 v[7:8], 2, v[7:8]
	v_lshlrev_b32_e32 v6, 2, v6
	v_add_co_u32_e32 v7, vcc, s19, v7
	v_addc_co_u32_e32 v9, vcc, v9, v8, vcc
	v_lshlrev_b64 v[14:15], 2, v[20:21]
	v_add_co_u32_e32 v8, vcc, v7, v6
	v_addc_co_u32_e32 v9, vcc, 0, v9, vcc
	v_mov_b32_e32 v20, s9
	v_or_b32_e32 v29, 5, v19
	v_add_co_u32_e32 v25, vcc, s8, v14
	v_mad_u64_u32 v[23:24], s[12:13], s10, v29, 0
	v_addc_co_u32_e32 v26, vcc, v20, v15, vcc
	v_mov_b32_e32 v2, s5
	v_add_co_u32_e32 v14, vcc, s4, v8
	v_addc_co_u32_e32 v15, vcc, v9, v2, vcc
	v_mov_b32_e32 v3, s7
	v_add_co_u32_e32 v2, vcc, s6, v8
	v_mad_u64_u32 v[6:7], s[12:13], s2, 12, v[8:9]
	v_addc_co_u32_e32 v3, vcc, v9, v3, vcc
	flat_load_dword v22, v[4:5]
	flat_load_dword v21, v[10:11]
	;; [unrolled: 1-line block ×6, first 2 shown]
	v_mov_b32_e32 v4, v24
	v_mad_u64_u32 v[4:5], s[4:5], s11, v29, v[4:5]
	v_or_b32_e32 v12, 6, v19
	v_mad_u64_u32 v[27:28], s[12:13], s3, 12, v[7:8]
	v_mad_u64_u32 v[10:11], s[4:5], s10, v12, 0
	v_mov_b32_e32 v24, v4
	v_lshlrev_b64 v[4:5], 2, v[23:24]
	v_mov_b32_e32 v7, v27
	flat_load_dword v35, v[16:17]
	flat_load_dword v36, v[6:7]
	v_mov_b32_e32 v13, s9
	v_mad_u64_u32 v[11:12], s[4:5], s11, v12, v[11:12]
	v_add_co_u32_e32 v4, vcc, s8, v4
	v_or_b32_e32 v16, 7, v18
	v_addc_co_u32_e32 v5, vcc, v13, v5, vcc
	v_mad_u64_u32 v[12:13], s[4:5], s10, v16, 0
	v_lshlrev_b64 v[10:11], 2, v[10:11]
	v_mov_b32_e32 v18, s9
	v_mad_u64_u32 v[16:17], s[4:5], s11, v16, v[13:14]
	v_add_co_u32_e32 v10, vcc, s8, v10
	v_addc_co_u32_e32 v11, vcc, v18, v11, vcc
	v_mad_u64_u32 v[17:18], s[4:5], s2, 20, v[8:9]
	v_mad_u64_u32 v[23:24], s[4:5], s2, 24, v[8:9]
	v_mov_b32_e32 v13, v16
	v_lshlrev_b64 v[12:13], 2, v[12:13]
	v_mov_b32_e32 v16, v18
	v_mov_b32_e32 v27, s9
	v_mad_u64_u32 v[18:19], s[4:5], s3, 20, v[16:17]
	v_add_co_u32_e32 v12, vcc, s8, v12
	v_mov_b32_e32 v16, v24
	v_addc_co_u32_e32 v13, vcc, v27, v13, vcc
	v_mad_u64_u32 v[27:28], s[4:5], s3, 24, v[16:17]
	v_mad_u64_u32 v[28:29], s[4:5], s2, 28, v[8:9]
	v_mov_b32_e32 v24, v27
	v_mov_b32_e32 v16, v29
	v_mad_u64_u32 v[29:30], s[2:3], s3, 28, v[16:17]
	flat_load_dword v16, v[0:1]
	v_mov_b32_e32 v1, s1
	v_add_co_u32_e32 v0, vcc, s0, v8
	v_addc_co_u32_e32 v1, vcc, v9, v1, vcc
	flat_load_dword v19, v[25:26]
	s_nop 0
	flat_load_dword v4, v[4:5]
	s_nop 0
	;; [unrolled: 2-line block ×3, first 2 shown]
	flat_load_dword v10, v[12:13]
	s_waitcnt vmcnt(0) lgkmcnt(0)
	v_mul_f32_e32 v11, s18, v31
	flat_load_dword v12, v[0:1] offset:256
	flat_load_dword v13, v[2:3] offset:256
	;; [unrolled: 1-line block ×6, first 2 shown]
	flat_load_dword v31, v[0:1]
	flat_load_dword v37, v[17:18]
	flat_load_dword v38, v[23:24] offset:256
	flat_load_dword v39, v[23:24]
	flat_load_dword v40, v[28:29] offset:256
	flat_load_dword v41, v[28:29]
	v_fmac_f32_e32 v32, v11, v22
	v_fmac_f32_e32 v33, v11, v21
	;; [unrolled: 1-line block ×4, first 2 shown]
	s_waitcnt vmcnt(0) lgkmcnt(0)
	v_fmac_f32_e32 v31, v11, v19
	v_fmac_f32_e32 v37, v11, v4
	;; [unrolled: 1-line block ×4, first 2 shown]
	v_mul_f32_e32 v11, s18, v16
	v_fmac_f32_e32 v26, v11, v22
	v_fmac_f32_e32 v25, v11, v21
	;; [unrolled: 1-line block ×3, first 2 shown]
	flat_store_dword v[8:9], v32
	flat_store_dword v[14:15], v33
	;; [unrolled: 1-line block ×8, first 2 shown]
	flat_store_dword v[8:9], v26 offset:256
	flat_store_dword v[14:15], v25 offset:256
	v_fmac_f32_e32 v27, v11, v35
	v_fmac_f32_e32 v12, v11, v19
	;; [unrolled: 1-line block ×5, first 2 shown]
	flat_store_dword v[2:3], v13 offset:256
	flat_store_dword v[6:7], v27 offset:256
	;; [unrolled: 1-line block ×6, first 2 shown]
.LBB34_6:
	s_endpgm
	.section	.rodata,"a",@progbits
	.p2align	6, 0x0
	.amdhsa_kernel _ZL34rocblas_ger_double_buffered_kernelILb0ELi128ELi8ELi8Ef24rocblas_internal_val_ptrIfEPKPKfPKPfEvbiiT4_lT5_lllSA_lllT6_lmli
		.amdhsa_group_segment_fixed_size 0
		.amdhsa_private_segment_fixed_size 0
		.amdhsa_kernarg_size 132
		.amdhsa_user_sgpr_count 6
		.amdhsa_user_sgpr_private_segment_buffer 1
		.amdhsa_user_sgpr_dispatch_ptr 0
		.amdhsa_user_sgpr_queue_ptr 0
		.amdhsa_user_sgpr_kernarg_segment_ptr 1
		.amdhsa_user_sgpr_dispatch_id 0
		.amdhsa_user_sgpr_flat_scratch_init 0
		.amdhsa_user_sgpr_private_segment_size 0
		.amdhsa_uses_dynamic_stack 0
		.amdhsa_system_sgpr_private_segment_wavefront_offset 0
		.amdhsa_system_sgpr_workgroup_id_x 1
		.amdhsa_system_sgpr_workgroup_id_y 1
		.amdhsa_system_sgpr_workgroup_id_z 1
		.amdhsa_system_sgpr_workgroup_info 0
		.amdhsa_system_vgpr_workitem_id 1
		.amdhsa_next_free_vgpr 42
		.amdhsa_next_free_sgpr 28
		.amdhsa_reserve_vcc 1
		.amdhsa_reserve_flat_scratch 0
		.amdhsa_float_round_mode_32 0
		.amdhsa_float_round_mode_16_64 0
		.amdhsa_float_denorm_mode_32 3
		.amdhsa_float_denorm_mode_16_64 3
		.amdhsa_dx10_clamp 1
		.amdhsa_ieee_mode 1
		.amdhsa_fp16_overflow 0
		.amdhsa_exception_fp_ieee_invalid_op 0
		.amdhsa_exception_fp_denorm_src 0
		.amdhsa_exception_fp_ieee_div_zero 0
		.amdhsa_exception_fp_ieee_overflow 0
		.amdhsa_exception_fp_ieee_underflow 0
		.amdhsa_exception_fp_ieee_inexact 0
		.amdhsa_exception_int_div_zero 0
	.end_amdhsa_kernel
	.section	.text._ZL34rocblas_ger_double_buffered_kernelILb0ELi128ELi8ELi8Ef24rocblas_internal_val_ptrIfEPKPKfPKPfEvbiiT4_lT5_lllSA_lllT6_lmli,"axG",@progbits,_ZL34rocblas_ger_double_buffered_kernelILb0ELi128ELi8ELi8Ef24rocblas_internal_val_ptrIfEPKPKfPKPfEvbiiT4_lT5_lllSA_lllT6_lmli,comdat
.Lfunc_end34:
	.size	_ZL34rocblas_ger_double_buffered_kernelILb0ELi128ELi8ELi8Ef24rocblas_internal_val_ptrIfEPKPKfPKPfEvbiiT4_lT5_lllSA_lllT6_lmli, .Lfunc_end34-_ZL34rocblas_ger_double_buffered_kernelILb0ELi128ELi8ELi8Ef24rocblas_internal_val_ptrIfEPKPKfPKPfEvbiiT4_lT5_lllSA_lllT6_lmli
                                        ; -- End function
	.set _ZL34rocblas_ger_double_buffered_kernelILb0ELi128ELi8ELi8Ef24rocblas_internal_val_ptrIfEPKPKfPKPfEvbiiT4_lT5_lllSA_lllT6_lmli.num_vgpr, 42
	.set _ZL34rocblas_ger_double_buffered_kernelILb0ELi128ELi8ELi8Ef24rocblas_internal_val_ptrIfEPKPKfPKPfEvbiiT4_lT5_lllSA_lllT6_lmli.num_agpr, 0
	.set _ZL34rocblas_ger_double_buffered_kernelILb0ELi128ELi8ELi8Ef24rocblas_internal_val_ptrIfEPKPKfPKPfEvbiiT4_lT5_lllSA_lllT6_lmli.numbered_sgpr, 28
	.set _ZL34rocblas_ger_double_buffered_kernelILb0ELi128ELi8ELi8Ef24rocblas_internal_val_ptrIfEPKPKfPKPfEvbiiT4_lT5_lllSA_lllT6_lmli.num_named_barrier, 0
	.set _ZL34rocblas_ger_double_buffered_kernelILb0ELi128ELi8ELi8Ef24rocblas_internal_val_ptrIfEPKPKfPKPfEvbiiT4_lT5_lllSA_lllT6_lmli.private_seg_size, 0
	.set _ZL34rocblas_ger_double_buffered_kernelILb0ELi128ELi8ELi8Ef24rocblas_internal_val_ptrIfEPKPKfPKPfEvbiiT4_lT5_lllSA_lllT6_lmli.uses_vcc, 1
	.set _ZL34rocblas_ger_double_buffered_kernelILb0ELi128ELi8ELi8Ef24rocblas_internal_val_ptrIfEPKPKfPKPfEvbiiT4_lT5_lllSA_lllT6_lmli.uses_flat_scratch, 0
	.set _ZL34rocblas_ger_double_buffered_kernelILb0ELi128ELi8ELi8Ef24rocblas_internal_val_ptrIfEPKPKfPKPfEvbiiT4_lT5_lllSA_lllT6_lmli.has_dyn_sized_stack, 0
	.set _ZL34rocblas_ger_double_buffered_kernelILb0ELi128ELi8ELi8Ef24rocblas_internal_val_ptrIfEPKPKfPKPfEvbiiT4_lT5_lllSA_lllT6_lmli.has_recursion, 0
	.set _ZL34rocblas_ger_double_buffered_kernelILb0ELi128ELi8ELi8Ef24rocblas_internal_val_ptrIfEPKPKfPKPfEvbiiT4_lT5_lllSA_lllT6_lmli.has_indirect_call, 0
	.section	.AMDGPU.csdata,"",@progbits
; Kernel info:
; codeLenInByte = 1468
; TotalNumSgprs: 32
; NumVgprs: 42
; ScratchSize: 0
; MemoryBound: 0
; FloatMode: 240
; IeeeMode: 1
; LDSByteSize: 0 bytes/workgroup (compile time only)
; SGPRBlocks: 3
; VGPRBlocks: 10
; NumSGPRsForWavesPerEU: 32
; NumVGPRsForWavesPerEU: 42
; Occupancy: 5
; WaveLimiterHint : 1
; COMPUTE_PGM_RSRC2:SCRATCH_EN: 0
; COMPUTE_PGM_RSRC2:USER_SGPR: 6
; COMPUTE_PGM_RSRC2:TRAP_HANDLER: 0
; COMPUTE_PGM_RSRC2:TGID_X_EN: 1
; COMPUTE_PGM_RSRC2:TGID_Y_EN: 1
; COMPUTE_PGM_RSRC2:TGID_Z_EN: 1
; COMPUTE_PGM_RSRC2:TIDIG_COMP_CNT: 1
	.section	.text._ZL26rocblas_sger_gfx942_kernelILi256EfPKfPKS1_PKPfEviiT1_lT2_lllS8_lllT3_lll,"axG",@progbits,_ZL26rocblas_sger_gfx942_kernelILi256EfPKfPKS1_PKPfEviiT1_lT2_lllS8_lllT3_lll,comdat
	.globl	_ZL26rocblas_sger_gfx942_kernelILi256EfPKfPKS1_PKPfEviiT1_lT2_lllS8_lllT3_lll ; -- Begin function _ZL26rocblas_sger_gfx942_kernelILi256EfPKfPKS1_PKPfEviiT1_lT2_lllS8_lllT3_lll
	.p2align	8
	.type	_ZL26rocblas_sger_gfx942_kernelILi256EfPKfPKS1_PKPfEviiT1_lT2_lllS8_lllT3_lll,@function
_ZL26rocblas_sger_gfx942_kernelILi256EfPKfPKS1_PKPfEviiT1_lT2_lllS8_lllT3_lll: ; @_ZL26rocblas_sger_gfx942_kernelILi256EfPKfPKS1_PKPfEviiT1_lT2_lllS8_lllT3_lll
; %bb.0:
	s_endpgm
	.section	.rodata,"a",@progbits
	.p2align	6, 0x0
	.amdhsa_kernel _ZL26rocblas_sger_gfx942_kernelILi256EfPKfPKS1_PKPfEviiT1_lT2_lllS8_lllT3_lll
		.amdhsa_group_segment_fixed_size 0
		.amdhsa_private_segment_fixed_size 0
		.amdhsa_kernarg_size 120
		.amdhsa_user_sgpr_count 6
		.amdhsa_user_sgpr_private_segment_buffer 1
		.amdhsa_user_sgpr_dispatch_ptr 0
		.amdhsa_user_sgpr_queue_ptr 0
		.amdhsa_user_sgpr_kernarg_segment_ptr 1
		.amdhsa_user_sgpr_dispatch_id 0
		.amdhsa_user_sgpr_flat_scratch_init 0
		.amdhsa_user_sgpr_private_segment_size 0
		.amdhsa_uses_dynamic_stack 0
		.amdhsa_system_sgpr_private_segment_wavefront_offset 0
		.amdhsa_system_sgpr_workgroup_id_x 1
		.amdhsa_system_sgpr_workgroup_id_y 0
		.amdhsa_system_sgpr_workgroup_id_z 0
		.amdhsa_system_sgpr_workgroup_info 0
		.amdhsa_system_vgpr_workitem_id 0
		.amdhsa_next_free_vgpr 1
		.amdhsa_next_free_sgpr 0
		.amdhsa_reserve_vcc 0
		.amdhsa_reserve_flat_scratch 0
		.amdhsa_float_round_mode_32 0
		.amdhsa_float_round_mode_16_64 0
		.amdhsa_float_denorm_mode_32 3
		.amdhsa_float_denorm_mode_16_64 3
		.amdhsa_dx10_clamp 1
		.amdhsa_ieee_mode 1
		.amdhsa_fp16_overflow 0
		.amdhsa_exception_fp_ieee_invalid_op 0
		.amdhsa_exception_fp_denorm_src 0
		.amdhsa_exception_fp_ieee_div_zero 0
		.amdhsa_exception_fp_ieee_overflow 0
		.amdhsa_exception_fp_ieee_underflow 0
		.amdhsa_exception_fp_ieee_inexact 0
		.amdhsa_exception_int_div_zero 0
	.end_amdhsa_kernel
	.section	.text._ZL26rocblas_sger_gfx942_kernelILi256EfPKfPKS1_PKPfEviiT1_lT2_lllS8_lllT3_lll,"axG",@progbits,_ZL26rocblas_sger_gfx942_kernelILi256EfPKfPKS1_PKPfEviiT1_lT2_lllS8_lllT3_lll,comdat
.Lfunc_end35:
	.size	_ZL26rocblas_sger_gfx942_kernelILi256EfPKfPKS1_PKPfEviiT1_lT2_lllS8_lllT3_lll, .Lfunc_end35-_ZL26rocblas_sger_gfx942_kernelILi256EfPKfPKS1_PKPfEviiT1_lT2_lllS8_lllT3_lll
                                        ; -- End function
	.set _ZL26rocblas_sger_gfx942_kernelILi256EfPKfPKS1_PKPfEviiT1_lT2_lllS8_lllT3_lll.num_vgpr, 0
	.set _ZL26rocblas_sger_gfx942_kernelILi256EfPKfPKS1_PKPfEviiT1_lT2_lllS8_lllT3_lll.num_agpr, 0
	.set _ZL26rocblas_sger_gfx942_kernelILi256EfPKfPKS1_PKPfEviiT1_lT2_lllS8_lllT3_lll.numbered_sgpr, 0
	.set _ZL26rocblas_sger_gfx942_kernelILi256EfPKfPKS1_PKPfEviiT1_lT2_lllS8_lllT3_lll.num_named_barrier, 0
	.set _ZL26rocblas_sger_gfx942_kernelILi256EfPKfPKS1_PKPfEviiT1_lT2_lllS8_lllT3_lll.private_seg_size, 0
	.set _ZL26rocblas_sger_gfx942_kernelILi256EfPKfPKS1_PKPfEviiT1_lT2_lllS8_lllT3_lll.uses_vcc, 0
	.set _ZL26rocblas_sger_gfx942_kernelILi256EfPKfPKS1_PKPfEviiT1_lT2_lllS8_lllT3_lll.uses_flat_scratch, 0
	.set _ZL26rocblas_sger_gfx942_kernelILi256EfPKfPKS1_PKPfEviiT1_lT2_lllS8_lllT3_lll.has_dyn_sized_stack, 0
	.set _ZL26rocblas_sger_gfx942_kernelILi256EfPKfPKS1_PKPfEviiT1_lT2_lllS8_lllT3_lll.has_recursion, 0
	.set _ZL26rocblas_sger_gfx942_kernelILi256EfPKfPKS1_PKPfEviiT1_lT2_lllS8_lllT3_lll.has_indirect_call, 0
	.section	.AMDGPU.csdata,"",@progbits
; Kernel info:
; codeLenInByte = 4
; TotalNumSgprs: 4
; NumVgprs: 0
; ScratchSize: 0
; MemoryBound: 0
; FloatMode: 240
; IeeeMode: 1
; LDSByteSize: 0 bytes/workgroup (compile time only)
; SGPRBlocks: 0
; VGPRBlocks: 0
; NumSGPRsForWavesPerEU: 4
; NumVGPRsForWavesPerEU: 1
; Occupancy: 10
; WaveLimiterHint : 0
; COMPUTE_PGM_RSRC2:SCRATCH_EN: 0
; COMPUTE_PGM_RSRC2:USER_SGPR: 6
; COMPUTE_PGM_RSRC2:TRAP_HANDLER: 0
; COMPUTE_PGM_RSRC2:TGID_X_EN: 1
; COMPUTE_PGM_RSRC2:TGID_Y_EN: 0
; COMPUTE_PGM_RSRC2:TGID_Z_EN: 0
; COMPUTE_PGM_RSRC2:TIDIG_COMP_CNT: 0
	.section	.text._ZL26rocblas_sger_gfx942_kernelILi256EffPKPKfPKPfEviiT1_lT2_lllS8_lllT3_lll,"axG",@progbits,_ZL26rocblas_sger_gfx942_kernelILi256EffPKPKfPKPfEviiT1_lT2_lllS8_lllT3_lll,comdat
	.globl	_ZL26rocblas_sger_gfx942_kernelILi256EffPKPKfPKPfEviiT1_lT2_lllS8_lllT3_lll ; -- Begin function _ZL26rocblas_sger_gfx942_kernelILi256EffPKPKfPKPfEviiT1_lT2_lllS8_lllT3_lll
	.p2align	8
	.type	_ZL26rocblas_sger_gfx942_kernelILi256EffPKPKfPKPfEviiT1_lT2_lllS8_lllT3_lll,@function
_ZL26rocblas_sger_gfx942_kernelILi256EffPKPKfPKPfEviiT1_lT2_lllS8_lllT3_lll: ; @_ZL26rocblas_sger_gfx942_kernelILi256EffPKPKfPKPfEviiT1_lT2_lllS8_lllT3_lll
; %bb.0:
	s_endpgm
	.section	.rodata,"a",@progbits
	.p2align	6, 0x0
	.amdhsa_kernel _ZL26rocblas_sger_gfx942_kernelILi256EffPKPKfPKPfEviiT1_lT2_lllS8_lllT3_lll
		.amdhsa_group_segment_fixed_size 0
		.amdhsa_private_segment_fixed_size 0
		.amdhsa_kernarg_size 120
		.amdhsa_user_sgpr_count 6
		.amdhsa_user_sgpr_private_segment_buffer 1
		.amdhsa_user_sgpr_dispatch_ptr 0
		.amdhsa_user_sgpr_queue_ptr 0
		.amdhsa_user_sgpr_kernarg_segment_ptr 1
		.amdhsa_user_sgpr_dispatch_id 0
		.amdhsa_user_sgpr_flat_scratch_init 0
		.amdhsa_user_sgpr_private_segment_size 0
		.amdhsa_uses_dynamic_stack 0
		.amdhsa_system_sgpr_private_segment_wavefront_offset 0
		.amdhsa_system_sgpr_workgroup_id_x 1
		.amdhsa_system_sgpr_workgroup_id_y 0
		.amdhsa_system_sgpr_workgroup_id_z 0
		.amdhsa_system_sgpr_workgroup_info 0
		.amdhsa_system_vgpr_workitem_id 0
		.amdhsa_next_free_vgpr 1
		.amdhsa_next_free_sgpr 0
		.amdhsa_reserve_vcc 0
		.amdhsa_reserve_flat_scratch 0
		.amdhsa_float_round_mode_32 0
		.amdhsa_float_round_mode_16_64 0
		.amdhsa_float_denorm_mode_32 3
		.amdhsa_float_denorm_mode_16_64 3
		.amdhsa_dx10_clamp 1
		.amdhsa_ieee_mode 1
		.amdhsa_fp16_overflow 0
		.amdhsa_exception_fp_ieee_invalid_op 0
		.amdhsa_exception_fp_denorm_src 0
		.amdhsa_exception_fp_ieee_div_zero 0
		.amdhsa_exception_fp_ieee_overflow 0
		.amdhsa_exception_fp_ieee_underflow 0
		.amdhsa_exception_fp_ieee_inexact 0
		.amdhsa_exception_int_div_zero 0
	.end_amdhsa_kernel
	.section	.text._ZL26rocblas_sger_gfx942_kernelILi256EffPKPKfPKPfEviiT1_lT2_lllS8_lllT3_lll,"axG",@progbits,_ZL26rocblas_sger_gfx942_kernelILi256EffPKPKfPKPfEviiT1_lT2_lllS8_lllT3_lll,comdat
.Lfunc_end36:
	.size	_ZL26rocblas_sger_gfx942_kernelILi256EffPKPKfPKPfEviiT1_lT2_lllS8_lllT3_lll, .Lfunc_end36-_ZL26rocblas_sger_gfx942_kernelILi256EffPKPKfPKPfEviiT1_lT2_lllS8_lllT3_lll
                                        ; -- End function
	.set _ZL26rocblas_sger_gfx942_kernelILi256EffPKPKfPKPfEviiT1_lT2_lllS8_lllT3_lll.num_vgpr, 0
	.set _ZL26rocblas_sger_gfx942_kernelILi256EffPKPKfPKPfEviiT1_lT2_lllS8_lllT3_lll.num_agpr, 0
	.set _ZL26rocblas_sger_gfx942_kernelILi256EffPKPKfPKPfEviiT1_lT2_lllS8_lllT3_lll.numbered_sgpr, 0
	.set _ZL26rocblas_sger_gfx942_kernelILi256EffPKPKfPKPfEviiT1_lT2_lllS8_lllT3_lll.num_named_barrier, 0
	.set _ZL26rocblas_sger_gfx942_kernelILi256EffPKPKfPKPfEviiT1_lT2_lllS8_lllT3_lll.private_seg_size, 0
	.set _ZL26rocblas_sger_gfx942_kernelILi256EffPKPKfPKPfEviiT1_lT2_lllS8_lllT3_lll.uses_vcc, 0
	.set _ZL26rocblas_sger_gfx942_kernelILi256EffPKPKfPKPfEviiT1_lT2_lllS8_lllT3_lll.uses_flat_scratch, 0
	.set _ZL26rocblas_sger_gfx942_kernelILi256EffPKPKfPKPfEviiT1_lT2_lllS8_lllT3_lll.has_dyn_sized_stack, 0
	.set _ZL26rocblas_sger_gfx942_kernelILi256EffPKPKfPKPfEviiT1_lT2_lllS8_lllT3_lll.has_recursion, 0
	.set _ZL26rocblas_sger_gfx942_kernelILi256EffPKPKfPKPfEviiT1_lT2_lllS8_lllT3_lll.has_indirect_call, 0
	.section	.AMDGPU.csdata,"",@progbits
; Kernel info:
; codeLenInByte = 4
; TotalNumSgprs: 4
; NumVgprs: 0
; ScratchSize: 0
; MemoryBound: 0
; FloatMode: 240
; IeeeMode: 1
; LDSByteSize: 0 bytes/workgroup (compile time only)
; SGPRBlocks: 0
; VGPRBlocks: 0
; NumSGPRsForWavesPerEU: 4
; NumVGPRsForWavesPerEU: 1
; Occupancy: 10
; WaveLimiterHint : 0
; COMPUTE_PGM_RSRC2:SCRATCH_EN: 0
; COMPUTE_PGM_RSRC2:USER_SGPR: 6
; COMPUTE_PGM_RSRC2:TRAP_HANDLER: 0
; COMPUTE_PGM_RSRC2:TGID_X_EN: 1
; COMPUTE_PGM_RSRC2:TGID_Y_EN: 0
; COMPUTE_PGM_RSRC2:TGID_Z_EN: 0
; COMPUTE_PGM_RSRC2:TIDIG_COMP_CNT: 0
	.section	.text._ZL19rocblas_sger_kernelILi1024EfPKfPKS1_PKPfEviiT1_lT2_lllS8_lllT3_lmli,"axG",@progbits,_ZL19rocblas_sger_kernelILi1024EfPKfPKS1_PKPfEviiT1_lT2_lllS8_lllT3_lmli,comdat
	.globl	_ZL19rocblas_sger_kernelILi1024EfPKfPKS1_PKPfEviiT1_lT2_lllS8_lllT3_lmli ; -- Begin function _ZL19rocblas_sger_kernelILi1024EfPKfPKS1_PKPfEviiT1_lT2_lllS8_lllT3_lmli
	.p2align	8
	.type	_ZL19rocblas_sger_kernelILi1024EfPKfPKS1_PKPfEviiT1_lT2_lllS8_lllT3_lmli,@function
_ZL19rocblas_sger_kernelILi1024EfPKfPKS1_PKPfEviiT1_lT2_lllS8_lllT3_lmli: ; @_ZL19rocblas_sger_kernelILi1024EfPKfPKS1_PKPfEviiT1_lT2_lllS8_lllT3_lmli
; %bb.0:
	s_load_dwordx4 s[0:3], s[4:5], 0x8
	s_mov_b32 s12, s7
	s_waitcnt lgkmcnt(0)
	s_mul_i32 s3, s3, s7
	s_mul_hi_u32 s7, s2, s7
	s_add_i32 s3, s7, s3
	s_mul_i32 s2, s2, s12
	s_lshl_b64 s[2:3], s[2:3], 2
	s_add_u32 s0, s0, s2
	s_addc_u32 s1, s1, s3
	s_load_dword s14, s[0:1], 0x0
	s_waitcnt lgkmcnt(0)
	v_cmp_eq_f32_e64 s[0:1], s14, 0
	s_and_b64 vcc, exec, s[0:1]
	s_cbranch_vccnz .LBB37_4
; %bb.1:
	s_load_dword s7, s[4:5], 0x0
	s_waitcnt lgkmcnt(0)
	v_cmp_gt_i32_e32 vcc, s7, v0
	s_and_saveexec_b64 s[0:1], vcc
	s_cbranch_execz .LBB37_4
; %bb.2:
	s_mov_b32 s13, 0
	s_load_dwordx2 s[16:17], s[4:5], 0x18
	s_load_dwordx4 s[0:3], s[4:5], 0x20
	s_load_dwordx2 s[18:19], s[4:5], 0x38
	s_load_dwordx4 s[8:11], s[4:5], 0x40
	s_lshl_b64 s[12:13], s[12:13], 3
	s_waitcnt lgkmcnt(0)
	s_add_u32 s20, s16, s12
	s_addc_u32 s21, s17, s13
	s_add_u32 s22, s18, s12
	s_addc_u32 s23, s19, s13
	s_load_dwordx2 s[24:25], s[22:23], 0x0
	s_load_dwordx2 s[26:27], s[4:5], 0x58
	s_load_dwordx4 s[16:19], s[4:5], 0x60
	s_lshl_b64 s[4:5], s[8:9], 2
	v_cndmask_b32_e32 v4, 0, v0, vcc
	s_waitcnt lgkmcnt(0)
	s_add_u32 s15, s24, s4
	s_addc_u32 s22, s25, s5
	s_add_u32 s4, s26, s12
	s_addc_u32 s5, s27, s13
	s_load_dwordx2 s[4:5], s[4:5], 0x0
	s_lshl_b64 s[8:9], s[16:17], 2
	s_mul_i32 s13, s19, s6
	s_mul_hi_u32 s12, s18, s6
	v_lshlrev_b32_e32 v6, 2, v4
	s_waitcnt lgkmcnt(0)
	s_add_u32 s16, s4, s8
	s_addc_u32 s17, s5, s9
	s_ashr_i32 s19, s6, 31
	s_mul_i32 s4, s18, s19
	s_add_i32 s4, s12, s4
	s_add_i32 s5, s4, s13
	s_mul_i32 s4, s18, s6
	s_lshl_b64 s[8:9], s[4:5], 2
	s_mul_hi_u32 s4, s10, s6
	s_mul_i32 s5, s10, s19
	s_add_i32 s4, s4, s5
	s_mul_i32 s5, s11, s6
	s_add_i32 s5, s4, s5
	s_mul_i32 s4, s10, s6
	s_lshl_b64 s[4:5], s[4:5], 2
	s_add_u32 s4, s15, s4
	s_addc_u32 s5, s22, s5
	v_mov_b32_e32 v1, s4
	v_mov_b32_e32 v2, s5
	flat_load_dword v5, v[1:2]
	v_mad_u64_u32 v[1:2], s[4:5], s2, v0, 0
	s_load_dwordx2 s[10:11], s[20:21], 0x0
	s_lshl_b64 s[0:1], s[0:1], 2
	v_mad_u64_u32 v[2:3], s[4:5], s3, v0, v[2:3]
	v_mov_b32_e32 v7, s9
	s_waitcnt lgkmcnt(0)
	s_add_u32 s6, s10, s0
	v_lshlrev_b64 v[3:4], 2, v[1:2]
	v_mov_b32_e32 v1, s17
	v_add_co_u32_e32 v2, vcc, s16, v6
	v_addc_co_u32_e32 v6, vcc, 0, v1, vcc
	v_add_co_u32_e32 v1, vcc, s8, v2
	v_addc_co_u32_e32 v2, vcc, v6, v7, vcc
	s_addc_u32 s8, s11, s1
	s_lshl_b64 s[0:1], s[2:3], 12
	v_mov_b32_e32 v6, s8
	v_add_co_u32_e32 v3, vcc, s6, v3
	s_mov_b64 s[4:5], 0
	v_addc_co_u32_e32 v4, vcc, v6, v4, vcc
	v_mov_b32_e32 v6, s1
	s_waitcnt vmcnt(0)
	v_mul_f32_e32 v5, s14, v5
.LBB37_3:                               ; =>This Inner Loop Header: Depth=1
	flat_load_dword v7, v[3:4]
	flat_load_dword v8, v[1:2]
	v_add_co_u32_e32 v3, vcc, s0, v3
	v_addc_co_u32_e32 v4, vcc, v4, v6, vcc
	v_add_u32_e32 v0, 0x400, v0
	v_cmp_le_i32_e32 vcc, s7, v0
	s_or_b64 s[4:5], vcc, s[4:5]
	s_waitcnt vmcnt(0) lgkmcnt(0)
	v_fmac_f32_e32 v8, v5, v7
	flat_store_dword v[1:2], v8
	v_add_co_u32_e32 v1, vcc, 0x1000, v1
	v_addc_co_u32_e32 v2, vcc, 0, v2, vcc
	s_andn2_b64 exec, exec, s[4:5]
	s_cbranch_execnz .LBB37_3
.LBB37_4:
	s_endpgm
	.section	.rodata,"a",@progbits
	.p2align	6, 0x0
	.amdhsa_kernel _ZL19rocblas_sger_kernelILi1024EfPKfPKS1_PKPfEviiT1_lT2_lllS8_lllT3_lmli
		.amdhsa_group_segment_fixed_size 0
		.amdhsa_private_segment_fixed_size 0
		.amdhsa_kernarg_size 124
		.amdhsa_user_sgpr_count 6
		.amdhsa_user_sgpr_private_segment_buffer 1
		.amdhsa_user_sgpr_dispatch_ptr 0
		.amdhsa_user_sgpr_queue_ptr 0
		.amdhsa_user_sgpr_kernarg_segment_ptr 1
		.amdhsa_user_sgpr_dispatch_id 0
		.amdhsa_user_sgpr_flat_scratch_init 0
		.amdhsa_user_sgpr_private_segment_size 0
		.amdhsa_uses_dynamic_stack 0
		.amdhsa_system_sgpr_private_segment_wavefront_offset 0
		.amdhsa_system_sgpr_workgroup_id_x 1
		.amdhsa_system_sgpr_workgroup_id_y 0
		.amdhsa_system_sgpr_workgroup_id_z 1
		.amdhsa_system_sgpr_workgroup_info 0
		.amdhsa_system_vgpr_workitem_id 0
		.amdhsa_next_free_vgpr 9
		.amdhsa_next_free_sgpr 28
		.amdhsa_reserve_vcc 1
		.amdhsa_reserve_flat_scratch 0
		.amdhsa_float_round_mode_32 0
		.amdhsa_float_round_mode_16_64 0
		.amdhsa_float_denorm_mode_32 3
		.amdhsa_float_denorm_mode_16_64 3
		.amdhsa_dx10_clamp 1
		.amdhsa_ieee_mode 1
		.amdhsa_fp16_overflow 0
		.amdhsa_exception_fp_ieee_invalid_op 0
		.amdhsa_exception_fp_denorm_src 0
		.amdhsa_exception_fp_ieee_div_zero 0
		.amdhsa_exception_fp_ieee_overflow 0
		.amdhsa_exception_fp_ieee_underflow 0
		.amdhsa_exception_fp_ieee_inexact 0
		.amdhsa_exception_int_div_zero 0
	.end_amdhsa_kernel
	.section	.text._ZL19rocblas_sger_kernelILi1024EfPKfPKS1_PKPfEviiT1_lT2_lllS8_lllT3_lmli,"axG",@progbits,_ZL19rocblas_sger_kernelILi1024EfPKfPKS1_PKPfEviiT1_lT2_lllS8_lllT3_lmli,comdat
.Lfunc_end37:
	.size	_ZL19rocblas_sger_kernelILi1024EfPKfPKS1_PKPfEviiT1_lT2_lllS8_lllT3_lmli, .Lfunc_end37-_ZL19rocblas_sger_kernelILi1024EfPKfPKS1_PKPfEviiT1_lT2_lllS8_lllT3_lmli
                                        ; -- End function
	.set _ZL19rocblas_sger_kernelILi1024EfPKfPKS1_PKPfEviiT1_lT2_lllS8_lllT3_lmli.num_vgpr, 9
	.set _ZL19rocblas_sger_kernelILi1024EfPKfPKS1_PKPfEviiT1_lT2_lllS8_lllT3_lmli.num_agpr, 0
	.set _ZL19rocblas_sger_kernelILi1024EfPKfPKS1_PKPfEviiT1_lT2_lllS8_lllT3_lmli.numbered_sgpr, 28
	.set _ZL19rocblas_sger_kernelILi1024EfPKfPKS1_PKPfEviiT1_lT2_lllS8_lllT3_lmli.num_named_barrier, 0
	.set _ZL19rocblas_sger_kernelILi1024EfPKfPKS1_PKPfEviiT1_lT2_lllS8_lllT3_lmli.private_seg_size, 0
	.set _ZL19rocblas_sger_kernelILi1024EfPKfPKS1_PKPfEviiT1_lT2_lllS8_lllT3_lmli.uses_vcc, 1
	.set _ZL19rocblas_sger_kernelILi1024EfPKfPKS1_PKPfEviiT1_lT2_lllS8_lllT3_lmli.uses_flat_scratch, 0
	.set _ZL19rocblas_sger_kernelILi1024EfPKfPKS1_PKPfEviiT1_lT2_lllS8_lllT3_lmli.has_dyn_sized_stack, 0
	.set _ZL19rocblas_sger_kernelILi1024EfPKfPKS1_PKPfEviiT1_lT2_lllS8_lllT3_lmli.has_recursion, 0
	.set _ZL19rocblas_sger_kernelILi1024EfPKfPKS1_PKPfEviiT1_lT2_lllS8_lllT3_lmli.has_indirect_call, 0
	.section	.AMDGPU.csdata,"",@progbits
; Kernel info:
; codeLenInByte = 504
; TotalNumSgprs: 32
; NumVgprs: 9
; ScratchSize: 0
; MemoryBound: 0
; FloatMode: 240
; IeeeMode: 1
; LDSByteSize: 0 bytes/workgroup (compile time only)
; SGPRBlocks: 3
; VGPRBlocks: 2
; NumSGPRsForWavesPerEU: 32
; NumVGPRsForWavesPerEU: 9
; Occupancy: 10
; WaveLimiterHint : 1
; COMPUTE_PGM_RSRC2:SCRATCH_EN: 0
; COMPUTE_PGM_RSRC2:USER_SGPR: 6
; COMPUTE_PGM_RSRC2:TRAP_HANDLER: 0
; COMPUTE_PGM_RSRC2:TGID_X_EN: 1
; COMPUTE_PGM_RSRC2:TGID_Y_EN: 0
; COMPUTE_PGM_RSRC2:TGID_Z_EN: 1
; COMPUTE_PGM_RSRC2:TIDIG_COMP_CNT: 0
	.section	.text._ZL19rocblas_sger_kernelILi1024EffPKPKfPKPfEviiT1_lT2_lllS8_lllT3_lmli,"axG",@progbits,_ZL19rocblas_sger_kernelILi1024EffPKPKfPKPfEviiT1_lT2_lllS8_lllT3_lmli,comdat
	.globl	_ZL19rocblas_sger_kernelILi1024EffPKPKfPKPfEviiT1_lT2_lllS8_lllT3_lmli ; -- Begin function _ZL19rocblas_sger_kernelILi1024EffPKPKfPKPfEviiT1_lT2_lllS8_lllT3_lmli
	.p2align	8
	.type	_ZL19rocblas_sger_kernelILi1024EffPKPKfPKPfEviiT1_lT2_lllS8_lllT3_lmli,@function
_ZL19rocblas_sger_kernelILi1024EffPKPKfPKPfEviiT1_lT2_lllS8_lllT3_lmli: ; @_ZL19rocblas_sger_kernelILi1024EffPKPKfPKPfEviiT1_lT2_lllS8_lllT3_lmli
; %bb.0:
	s_load_dword s14, s[4:5], 0x8
	s_waitcnt lgkmcnt(0)
	v_cmp_eq_f32_e64 s[0:1], s14, 0
	s_and_b64 vcc, exec, s[0:1]
	s_cbranch_vccnz .LBB38_4
; %bb.1:
	s_mov_b32 s12, s7
	s_load_dword s7, s[4:5], 0x0
	s_waitcnt lgkmcnt(0)
	v_cmp_gt_i32_e32 vcc, s7, v0
	s_and_saveexec_b64 s[0:1], vcc
	s_cbranch_execz .LBB38_4
; %bb.2:
	s_load_dwordx2 s[16:17], s[4:5], 0x18
	s_load_dwordx4 s[0:3], s[4:5], 0x20
	s_load_dwordx2 s[18:19], s[4:5], 0x38
	s_load_dwordx4 s[8:11], s[4:5], 0x40
	s_mov_b32 s13, 0
	s_lshl_b64 s[12:13], s[12:13], 3
	s_waitcnt lgkmcnt(0)
	s_add_u32 s20, s16, s12
	s_addc_u32 s21, s17, s13
	s_add_u32 s22, s18, s12
	s_addc_u32 s23, s19, s13
	s_load_dwordx2 s[24:25], s[22:23], 0x0
	s_load_dwordx2 s[26:27], s[4:5], 0x58
	s_load_dwordx4 s[16:19], s[4:5], 0x60
	s_lshl_b64 s[4:5], s[8:9], 2
	v_cndmask_b32_e32 v4, 0, v0, vcc
	s_waitcnt lgkmcnt(0)
	s_add_u32 s15, s24, s4
	s_addc_u32 s22, s25, s5
	s_add_u32 s4, s26, s12
	s_addc_u32 s5, s27, s13
	s_load_dwordx2 s[4:5], s[4:5], 0x0
	s_lshl_b64 s[8:9], s[16:17], 2
	s_mul_i32 s13, s19, s6
	s_mul_hi_u32 s12, s18, s6
	v_lshlrev_b32_e32 v6, 2, v4
	s_waitcnt lgkmcnt(0)
	s_add_u32 s16, s4, s8
	s_addc_u32 s17, s5, s9
	s_ashr_i32 s19, s6, 31
	s_mul_i32 s4, s18, s19
	s_add_i32 s4, s12, s4
	s_add_i32 s5, s4, s13
	s_mul_i32 s4, s18, s6
	s_lshl_b64 s[8:9], s[4:5], 2
	s_mul_hi_u32 s4, s10, s6
	s_mul_i32 s5, s10, s19
	s_add_i32 s4, s4, s5
	s_mul_i32 s5, s11, s6
	s_add_i32 s5, s4, s5
	s_mul_i32 s4, s10, s6
	s_lshl_b64 s[4:5], s[4:5], 2
	s_add_u32 s4, s15, s4
	s_addc_u32 s5, s22, s5
	v_mov_b32_e32 v1, s4
	v_mov_b32_e32 v2, s5
	flat_load_dword v5, v[1:2]
	v_mad_u64_u32 v[1:2], s[4:5], s2, v0, 0
	s_load_dwordx2 s[10:11], s[20:21], 0x0
	s_lshl_b64 s[0:1], s[0:1], 2
	v_mad_u64_u32 v[2:3], s[4:5], s3, v0, v[2:3]
	v_mov_b32_e32 v7, s9
	s_waitcnt lgkmcnt(0)
	s_add_u32 s6, s10, s0
	v_lshlrev_b64 v[3:4], 2, v[1:2]
	v_mov_b32_e32 v1, s17
	v_add_co_u32_e32 v2, vcc, s16, v6
	v_addc_co_u32_e32 v6, vcc, 0, v1, vcc
	v_add_co_u32_e32 v1, vcc, s8, v2
	v_addc_co_u32_e32 v2, vcc, v6, v7, vcc
	s_addc_u32 s8, s11, s1
	s_lshl_b64 s[0:1], s[2:3], 12
	v_mov_b32_e32 v6, s8
	v_add_co_u32_e32 v3, vcc, s6, v3
	s_mov_b64 s[4:5], 0
	v_addc_co_u32_e32 v4, vcc, v6, v4, vcc
	v_mov_b32_e32 v6, s1
	s_waitcnt vmcnt(0)
	v_mul_f32_e32 v5, s14, v5
.LBB38_3:                               ; =>This Inner Loop Header: Depth=1
	flat_load_dword v7, v[3:4]
	flat_load_dword v8, v[1:2]
	v_add_co_u32_e32 v3, vcc, s0, v3
	v_addc_co_u32_e32 v4, vcc, v4, v6, vcc
	v_add_u32_e32 v0, 0x400, v0
	v_cmp_le_i32_e32 vcc, s7, v0
	s_or_b64 s[4:5], vcc, s[4:5]
	s_waitcnt vmcnt(0) lgkmcnt(0)
	v_fmac_f32_e32 v8, v5, v7
	flat_store_dword v[1:2], v8
	v_add_co_u32_e32 v1, vcc, 0x1000, v1
	v_addc_co_u32_e32 v2, vcc, 0, v2, vcc
	s_andn2_b64 exec, exec, s[4:5]
	s_cbranch_execnz .LBB38_3
.LBB38_4:
	s_endpgm
	.section	.rodata,"a",@progbits
	.p2align	6, 0x0
	.amdhsa_kernel _ZL19rocblas_sger_kernelILi1024EffPKPKfPKPfEviiT1_lT2_lllS8_lllT3_lmli
		.amdhsa_group_segment_fixed_size 0
		.amdhsa_private_segment_fixed_size 0
		.amdhsa_kernarg_size 124
		.amdhsa_user_sgpr_count 6
		.amdhsa_user_sgpr_private_segment_buffer 1
		.amdhsa_user_sgpr_dispatch_ptr 0
		.amdhsa_user_sgpr_queue_ptr 0
		.amdhsa_user_sgpr_kernarg_segment_ptr 1
		.amdhsa_user_sgpr_dispatch_id 0
		.amdhsa_user_sgpr_flat_scratch_init 0
		.amdhsa_user_sgpr_private_segment_size 0
		.amdhsa_uses_dynamic_stack 0
		.amdhsa_system_sgpr_private_segment_wavefront_offset 0
		.amdhsa_system_sgpr_workgroup_id_x 1
		.amdhsa_system_sgpr_workgroup_id_y 0
		.amdhsa_system_sgpr_workgroup_id_z 1
		.amdhsa_system_sgpr_workgroup_info 0
		.amdhsa_system_vgpr_workitem_id 0
		.amdhsa_next_free_vgpr 9
		.amdhsa_next_free_sgpr 28
		.amdhsa_reserve_vcc 1
		.amdhsa_reserve_flat_scratch 0
		.amdhsa_float_round_mode_32 0
		.amdhsa_float_round_mode_16_64 0
		.amdhsa_float_denorm_mode_32 3
		.amdhsa_float_denorm_mode_16_64 3
		.amdhsa_dx10_clamp 1
		.amdhsa_ieee_mode 1
		.amdhsa_fp16_overflow 0
		.amdhsa_exception_fp_ieee_invalid_op 0
		.amdhsa_exception_fp_denorm_src 0
		.amdhsa_exception_fp_ieee_div_zero 0
		.amdhsa_exception_fp_ieee_overflow 0
		.amdhsa_exception_fp_ieee_underflow 0
		.amdhsa_exception_fp_ieee_inexact 0
		.amdhsa_exception_int_div_zero 0
	.end_amdhsa_kernel
	.section	.text._ZL19rocblas_sger_kernelILi1024EffPKPKfPKPfEviiT1_lT2_lllS8_lllT3_lmli,"axG",@progbits,_ZL19rocblas_sger_kernelILi1024EffPKPKfPKPfEviiT1_lT2_lllS8_lllT3_lmli,comdat
.Lfunc_end38:
	.size	_ZL19rocblas_sger_kernelILi1024EffPKPKfPKPfEviiT1_lT2_lllS8_lllT3_lmli, .Lfunc_end38-_ZL19rocblas_sger_kernelILi1024EffPKPKfPKPfEviiT1_lT2_lllS8_lllT3_lmli
                                        ; -- End function
	.set _ZL19rocblas_sger_kernelILi1024EffPKPKfPKPfEviiT1_lT2_lllS8_lllT3_lmli.num_vgpr, 9
	.set _ZL19rocblas_sger_kernelILi1024EffPKPKfPKPfEviiT1_lT2_lllS8_lllT3_lmli.num_agpr, 0
	.set _ZL19rocblas_sger_kernelILi1024EffPKPKfPKPfEviiT1_lT2_lllS8_lllT3_lmli.numbered_sgpr, 28
	.set _ZL19rocblas_sger_kernelILi1024EffPKPKfPKPfEviiT1_lT2_lllS8_lllT3_lmli.num_named_barrier, 0
	.set _ZL19rocblas_sger_kernelILi1024EffPKPKfPKPfEviiT1_lT2_lllS8_lllT3_lmli.private_seg_size, 0
	.set _ZL19rocblas_sger_kernelILi1024EffPKPKfPKPfEviiT1_lT2_lllS8_lllT3_lmli.uses_vcc, 1
	.set _ZL19rocblas_sger_kernelILi1024EffPKPKfPKPfEviiT1_lT2_lllS8_lllT3_lmli.uses_flat_scratch, 0
	.set _ZL19rocblas_sger_kernelILi1024EffPKPKfPKPfEviiT1_lT2_lllS8_lllT3_lmli.has_dyn_sized_stack, 0
	.set _ZL19rocblas_sger_kernelILi1024EffPKPKfPKPfEviiT1_lT2_lllS8_lllT3_lmli.has_recursion, 0
	.set _ZL19rocblas_sger_kernelILi1024EffPKPKfPKPfEviiT1_lT2_lllS8_lllT3_lmli.has_indirect_call, 0
	.section	.AMDGPU.csdata,"",@progbits
; Kernel info:
; codeLenInByte = 464
; TotalNumSgprs: 32
; NumVgprs: 9
; ScratchSize: 0
; MemoryBound: 0
; FloatMode: 240
; IeeeMode: 1
; LDSByteSize: 0 bytes/workgroup (compile time only)
; SGPRBlocks: 3
; VGPRBlocks: 2
; NumSGPRsForWavesPerEU: 32
; NumVGPRsForWavesPerEU: 9
; Occupancy: 10
; WaveLimiterHint : 1
; COMPUTE_PGM_RSRC2:SCRATCH_EN: 0
; COMPUTE_PGM_RSRC2:USER_SGPR: 6
; COMPUTE_PGM_RSRC2:TRAP_HANDLER: 0
; COMPUTE_PGM_RSRC2:TGID_X_EN: 1
; COMPUTE_PGM_RSRC2:TGID_Y_EN: 0
; COMPUTE_PGM_RSRC2:TGID_Z_EN: 1
; COMPUTE_PGM_RSRC2:TIDIG_COMP_CNT: 0
	.section	.text._ZL18rocblas_ger_kernelILi32ELi32ELi2ELb0EfPKfPKS1_PKPfEviiT4_lT5_lllS8_lllT6_lmli,"axG",@progbits,_ZL18rocblas_ger_kernelILi32ELi32ELi2ELb0EfPKfPKS1_PKPfEviiT4_lT5_lllS8_lllT6_lmli,comdat
	.globl	_ZL18rocblas_ger_kernelILi32ELi32ELi2ELb0EfPKfPKS1_PKPfEviiT4_lT5_lllS8_lllT6_lmli ; -- Begin function _ZL18rocblas_ger_kernelILi32ELi32ELi2ELb0EfPKfPKS1_PKPfEviiT4_lT5_lllS8_lllT6_lmli
	.p2align	8
	.type	_ZL18rocblas_ger_kernelILi32ELi32ELi2ELb0EfPKfPKS1_PKPfEviiT4_lT5_lllS8_lllT6_lmli,@function
_ZL18rocblas_ger_kernelILi32ELi32ELi2ELb0EfPKfPKS1_PKPfEviiT4_lT5_lllS8_lllT6_lmli: ; @_ZL18rocblas_ger_kernelILi32ELi32ELi2ELb0EfPKfPKS1_PKPfEviiT4_lT5_lllS8_lllT6_lmli
; %bb.0:
	s_load_dwordx2 s[8:9], s[4:5], 0x0
	s_load_dwordx4 s[12:15], s[4:5], 0x8
	s_mov_b32 s0, s7
	s_waitcnt lgkmcnt(0)
	s_add_i32 s1, s8, -1
	s_ashr_i32 s2, s1, 31
	s_lshr_b32 s2, s2, 27
	s_add_i32 s1, s1, s2
	s_ashr_i32 s1, s1, 5
	s_add_i32 s2, s1, 1
	v_cvt_f32_u32_e32 v2, s2
	s_mul_i32 s3, s15, s7
	s_mul_hi_u32 s7, s14, s7
	s_mul_i32 s10, s14, s0
	s_add_i32 s11, s7, s3
	v_rcp_iflag_f32_e32 v2, v2
	s_lshl_b64 s[10:11], s[10:11], 2
	s_add_u32 s10, s12, s10
	s_addc_u32 s11, s13, s11
	s_load_dword s14, s[10:11], 0x0
	v_mul_f32_e32 v2, 0x4f7ffffe, v2
	v_cvt_u32_f32_e32 v2, v2
	s_waitcnt lgkmcnt(0)
	v_cmp_eq_f32_e64 s[10:11], s14, 0
	v_readfirstlane_b32 s3, v2
	s_and_b64 vcc, exec, s[10:11]
	s_cbranch_vccnz .LBB39_14
; %bb.1:
	s_not_b32 s1, s1
	s_mul_i32 s1, s1, s3
	s_mul_hi_u32 s1, s3, s1
	s_add_i32 s3, s3, s1
	s_mul_hi_u32 s3, s6, s3
	s_mul_i32 s7, s3, s2
	s_sub_i32 s7, s6, s7
	s_add_i32 s10, s3, 1
	s_sub_i32 s11, s7, s2
	s_cmp_ge_u32 s7, s2
	s_cselect_b32 s3, s10, s3
	s_load_dwordx2 s[12:13], s[4:5], 0x58
	s_load_dwordx2 s[16:17], s[4:5], 0x38
	s_cselect_b32 s7, s11, s7
	s_add_i32 s10, s3, 1
	s_cmp_ge_u32 s7, s2
	s_cselect_b32 s15, s10, s3
	s_mov_b32 s1, 0
	s_mul_i32 s2, s15, s2
	s_sub_i32 s18, s6, s2
	s_lshl_b64 s[10:11], s[0:1], 3
	s_waitcnt lgkmcnt(0)
	s_add_u32 s0, s16, s10
	s_addc_u32 s1, s17, s11
	s_add_u32 s2, s12, s10
	s_addc_u32 s3, s13, s11
	s_load_dwordx2 s[0:1], s[0:1], 0x0
	v_lshl_add_u32 v2, s18, 5, v0
	s_load_dwordx2 s[6:7], s[2:3], 0x0
	v_cmp_eq_u32_e32 vcc, 0, v1
	s_and_saveexec_b64 s[2:3], vcc
	s_cbranch_execz .LBB39_5
; %bb.2:
	v_cmp_gt_i32_e32 vcc, s8, v2
	v_mov_b32_e32 v3, 0
	s_and_saveexec_b64 s[12:13], vcc
	s_cbranch_execz .LBB39_4
; %bb.3:
	s_load_dwordx2 s[20:21], s[4:5], 0x18
	s_load_dwordx4 s[16:19], s[4:5], 0x20
	v_ashrrev_i32_e32 v3, 31, v2
	s_waitcnt lgkmcnt(0)
	s_add_u32 s10, s20, s10
	s_addc_u32 s11, s21, s11
	v_mul_lo_u32 v5, s19, v2
	v_mul_lo_u32 v6, s18, v3
	v_mad_u64_u32 v[3:4], s[18:19], s18, v2, 0
	s_load_dwordx2 s[10:11], s[10:11], 0x0
	s_lshl_b64 s[16:17], s[16:17], 2
	v_add3_u32 v4, v4, v6, v5
	v_lshlrev_b64 v[3:4], 2, v[3:4]
	s_waitcnt lgkmcnt(0)
	s_add_u32 s10, s10, s16
	s_addc_u32 s11, s11, s17
	v_mov_b32_e32 v5, s11
	v_add_co_u32_e32 v3, vcc, s10, v3
	v_addc_co_u32_e32 v4, vcc, v5, v4, vcc
	flat_load_dword v3, v[3:4]
.LBB39_4:
	s_or_b64 exec, exec, s[12:13]
	v_lshlrev_b32_e32 v4, 2, v0
	s_waitcnt vmcnt(0) lgkmcnt(0)
	ds_write_b32 v4, v3 offset:256
.LBB39_5:
	s_or_b64 exec, exec, s[2:3]
	v_lshlrev_b32_e32 v3, 1, v1
	v_lshl_add_u32 v1, s15, 6, v3
	v_cmp_gt_u32_e32 vcc, 2, v0
	s_and_saveexec_b64 s[2:3], vcc
	s_cbranch_execz .LBB39_9
; %bb.6:
	v_or_b32_e32 v4, v1, v0
	v_cmp_gt_u32_e32 vcc, s9, v4
	v_mov_b32_e32 v5, 0
	s_and_saveexec_b64 s[10:11], vcc
	s_cbranch_execz .LBB39_8
; %bb.7:
	s_load_dwordx4 s[16:19], s[4:5], 0x40
	s_waitcnt lgkmcnt(0)
	v_mad_u64_u32 v[5:6], s[12:13], s18, v4, 0
	s_lshl_b64 s[12:13], s[16:17], 2
	s_add_u32 s0, s0, s12
	v_mad_u64_u32 v[6:7], s[16:17], s19, v4, v[6:7]
	s_addc_u32 s1, s1, s13
	v_mov_b32_e32 v7, s1
	v_lshlrev_b64 v[4:5], 2, v[5:6]
	v_add_co_u32_e32 v4, vcc, s0, v4
	v_addc_co_u32_e32 v5, vcc, v7, v5, vcc
	flat_load_dword v5, v[4:5]
.LBB39_8:
	s_or_b64 exec, exec, s[10:11]
	v_lshlrev_b32_e32 v4, 2, v0
	v_lshl_add_u32 v4, v3, 2, v4
	s_waitcnt vmcnt(0) lgkmcnt(0)
	ds_write_b32 v4, v5
.LBB39_9:
	s_or_b64 exec, exec, s[2:3]
	v_cmp_gt_i32_e32 vcc, s8, v2
	s_waitcnt lgkmcnt(0)
	s_barrier
	s_and_saveexec_b64 s[0:1], vcc
	s_cbranch_execz .LBB39_14
; %bb.10:
	s_load_dwordx4 s[0:3], s[4:5], 0x60
	v_lshlrev_b32_e32 v0, 2, v0
	ds_read_b32 v4, v0 offset:256
	v_lshlrev_b32_e32 v0, 2, v3
	v_ashrrev_i32_e32 v3, 31, v2
	s_waitcnt lgkmcnt(0)
	s_lshl_b64 s[0:1], s[0:1], 2
	s_add_u32 s0, s6, s0
	v_lshlrev_b64 v[2:3], 2, v[2:3]
	s_addc_u32 s1, s7, s1
	v_mov_b32_e32 v5, s1
	v_add_co_u32_e32 v2, vcc, s0, v2
	v_addc_co_u32_e32 v3, vcc, v5, v3, vcc
	v_mul_f32_e32 v4, s14, v4
	v_cmp_gt_i32_e32 vcc, s9, v1
	s_and_saveexec_b64 s[0:1], vcc
	s_cbranch_execz .LBB39_12
; %bb.11:
	v_ashrrev_i32_e32 v7, 31, v1
	v_mul_lo_u32 v8, s3, v1
	v_mad_u64_u32 v[5:6], s[4:5], s2, v1, 0
	v_mul_lo_u32 v7, s2, v7
	v_add3_u32 v6, v6, v7, v8
	v_lshlrev_b64 v[5:6], 2, v[5:6]
	ds_read_b32 v8, v0
	v_add_co_u32_e32 v5, vcc, v2, v5
	v_addc_co_u32_e32 v6, vcc, v3, v6, vcc
	flat_load_dword v7, v[5:6]
	s_waitcnt vmcnt(0) lgkmcnt(0)
	v_fmac_f32_e32 v7, v4, v8
	flat_store_dword v[5:6], v7
.LBB39_12:
	s_or_b64 exec, exec, s[0:1]
	v_or_b32_e32 v1, 1, v1
	v_cmp_gt_i32_e32 vcc, s9, v1
	s_and_b64 exec, exec, vcc
	s_cbranch_execz .LBB39_14
; %bb.13:
	v_ashrrev_i32_e32 v7, 31, v1
	v_mul_lo_u32 v8, s3, v1
	v_mad_u64_u32 v[5:6], s[0:1], s2, v1, 0
	v_mul_lo_u32 v1, s2, v7
	ds_read_b32 v0, v0 offset:4
	v_add3_u32 v6, v6, v1, v8
	v_lshlrev_b64 v[5:6], 2, v[5:6]
	v_add_co_u32_e32 v1, vcc, v2, v5
	v_addc_co_u32_e32 v2, vcc, v3, v6, vcc
	flat_load_dword v3, v[1:2]
	s_waitcnt vmcnt(0) lgkmcnt(0)
	v_fmac_f32_e32 v3, v4, v0
	flat_store_dword v[1:2], v3
.LBB39_14:
	s_endpgm
	.section	.rodata,"a",@progbits
	.p2align	6, 0x0
	.amdhsa_kernel _ZL18rocblas_ger_kernelILi32ELi32ELi2ELb0EfPKfPKS1_PKPfEviiT4_lT5_lllS8_lllT6_lmli
		.amdhsa_group_segment_fixed_size 384
		.amdhsa_private_segment_fixed_size 0
		.amdhsa_kernarg_size 124
		.amdhsa_user_sgpr_count 6
		.amdhsa_user_sgpr_private_segment_buffer 1
		.amdhsa_user_sgpr_dispatch_ptr 0
		.amdhsa_user_sgpr_queue_ptr 0
		.amdhsa_user_sgpr_kernarg_segment_ptr 1
		.amdhsa_user_sgpr_dispatch_id 0
		.amdhsa_user_sgpr_flat_scratch_init 0
		.amdhsa_user_sgpr_private_segment_size 0
		.amdhsa_uses_dynamic_stack 0
		.amdhsa_system_sgpr_private_segment_wavefront_offset 0
		.amdhsa_system_sgpr_workgroup_id_x 1
		.amdhsa_system_sgpr_workgroup_id_y 0
		.amdhsa_system_sgpr_workgroup_id_z 1
		.amdhsa_system_sgpr_workgroup_info 0
		.amdhsa_system_vgpr_workitem_id 1
		.amdhsa_next_free_vgpr 9
		.amdhsa_next_free_sgpr 22
		.amdhsa_reserve_vcc 1
		.amdhsa_reserve_flat_scratch 0
		.amdhsa_float_round_mode_32 0
		.amdhsa_float_round_mode_16_64 0
		.amdhsa_float_denorm_mode_32 3
		.amdhsa_float_denorm_mode_16_64 3
		.amdhsa_dx10_clamp 1
		.amdhsa_ieee_mode 1
		.amdhsa_fp16_overflow 0
		.amdhsa_exception_fp_ieee_invalid_op 0
		.amdhsa_exception_fp_denorm_src 0
		.amdhsa_exception_fp_ieee_div_zero 0
		.amdhsa_exception_fp_ieee_overflow 0
		.amdhsa_exception_fp_ieee_underflow 0
		.amdhsa_exception_fp_ieee_inexact 0
		.amdhsa_exception_int_div_zero 0
	.end_amdhsa_kernel
	.section	.text._ZL18rocblas_ger_kernelILi32ELi32ELi2ELb0EfPKfPKS1_PKPfEviiT4_lT5_lllS8_lllT6_lmli,"axG",@progbits,_ZL18rocblas_ger_kernelILi32ELi32ELi2ELb0EfPKfPKS1_PKPfEviiT4_lT5_lllS8_lllT6_lmli,comdat
.Lfunc_end39:
	.size	_ZL18rocblas_ger_kernelILi32ELi32ELi2ELb0EfPKfPKS1_PKPfEviiT4_lT5_lllS8_lllT6_lmli, .Lfunc_end39-_ZL18rocblas_ger_kernelILi32ELi32ELi2ELb0EfPKfPKS1_PKPfEviiT4_lT5_lllS8_lllT6_lmli
                                        ; -- End function
	.set _ZL18rocblas_ger_kernelILi32ELi32ELi2ELb0EfPKfPKS1_PKPfEviiT4_lT5_lllS8_lllT6_lmli.num_vgpr, 9
	.set _ZL18rocblas_ger_kernelILi32ELi32ELi2ELb0EfPKfPKS1_PKPfEviiT4_lT5_lllS8_lllT6_lmli.num_agpr, 0
	.set _ZL18rocblas_ger_kernelILi32ELi32ELi2ELb0EfPKfPKS1_PKPfEviiT4_lT5_lllS8_lllT6_lmli.numbered_sgpr, 22
	.set _ZL18rocblas_ger_kernelILi32ELi32ELi2ELb0EfPKfPKS1_PKPfEviiT4_lT5_lllS8_lllT6_lmli.num_named_barrier, 0
	.set _ZL18rocblas_ger_kernelILi32ELi32ELi2ELb0EfPKfPKS1_PKPfEviiT4_lT5_lllS8_lllT6_lmli.private_seg_size, 0
	.set _ZL18rocblas_ger_kernelILi32ELi32ELi2ELb0EfPKfPKS1_PKPfEviiT4_lT5_lllS8_lllT6_lmli.uses_vcc, 1
	.set _ZL18rocblas_ger_kernelILi32ELi32ELi2ELb0EfPKfPKS1_PKPfEviiT4_lT5_lllS8_lllT6_lmli.uses_flat_scratch, 0
	.set _ZL18rocblas_ger_kernelILi32ELi32ELi2ELb0EfPKfPKS1_PKPfEviiT4_lT5_lllS8_lllT6_lmli.has_dyn_sized_stack, 0
	.set _ZL18rocblas_ger_kernelILi32ELi32ELi2ELb0EfPKfPKS1_PKPfEviiT4_lT5_lllS8_lllT6_lmli.has_recursion, 0
	.set _ZL18rocblas_ger_kernelILi32ELi32ELi2ELb0EfPKfPKS1_PKPfEviiT4_lT5_lllS8_lllT6_lmli.has_indirect_call, 0
	.section	.AMDGPU.csdata,"",@progbits
; Kernel info:
; codeLenInByte = 868
; TotalNumSgprs: 26
; NumVgprs: 9
; ScratchSize: 0
; MemoryBound: 0
; FloatMode: 240
; IeeeMode: 1
; LDSByteSize: 384 bytes/workgroup (compile time only)
; SGPRBlocks: 3
; VGPRBlocks: 2
; NumSGPRsForWavesPerEU: 26
; NumVGPRsForWavesPerEU: 9
; Occupancy: 10
; WaveLimiterHint : 1
; COMPUTE_PGM_RSRC2:SCRATCH_EN: 0
; COMPUTE_PGM_RSRC2:USER_SGPR: 6
; COMPUTE_PGM_RSRC2:TRAP_HANDLER: 0
; COMPUTE_PGM_RSRC2:TGID_X_EN: 1
; COMPUTE_PGM_RSRC2:TGID_Y_EN: 0
; COMPUTE_PGM_RSRC2:TGID_Z_EN: 1
; COMPUTE_PGM_RSRC2:TIDIG_COMP_CNT: 1
	.section	.text._ZL18rocblas_ger_kernelILi32ELi32ELi2ELb0EffPKPKfPKPfEviiT4_lT5_lllS8_lllT6_lmli,"axG",@progbits,_ZL18rocblas_ger_kernelILi32ELi32ELi2ELb0EffPKPKfPKPfEviiT4_lT5_lllS8_lllT6_lmli,comdat
	.globl	_ZL18rocblas_ger_kernelILi32ELi32ELi2ELb0EffPKPKfPKPfEviiT4_lT5_lllS8_lllT6_lmli ; -- Begin function _ZL18rocblas_ger_kernelILi32ELi32ELi2ELb0EffPKPKfPKPfEviiT4_lT5_lllS8_lllT6_lmli
	.p2align	8
	.type	_ZL18rocblas_ger_kernelILi32ELi32ELi2ELb0EffPKPKfPKPfEviiT4_lT5_lllS8_lllT6_lmli,@function
_ZL18rocblas_ger_kernelILi32ELi32ELi2ELb0EffPKPKfPKPfEviiT4_lT5_lllS8_lllT6_lmli: ; @_ZL18rocblas_ger_kernelILi32ELi32ELi2ELb0EffPKPKfPKPfEviiT4_lT5_lllS8_lllT6_lmli
; %bb.0:
	s_load_dwordx4 s[0:3], s[4:5], 0x0
	s_mov_b32 s8, s7
	s_mov_b32 s9, 0
	s_waitcnt lgkmcnt(0)
	s_add_i32 s3, s0, -1
	s_ashr_i32 s7, s3, 31
	s_lshr_b32 s7, s7, 27
	s_add_i32 s3, s3, s7
	s_ashr_i32 s3, s3, 5
	s_add_i32 s7, s3, 1
	v_cvt_f32_u32_e32 v2, s7
	v_cmp_eq_f32_e64 s[10:11], s2, 0
	s_and_b64 vcc, exec, s[10:11]
	v_rcp_iflag_f32_e32 v2, v2
	v_mul_f32_e32 v2, 0x4f7ffffe, v2
	v_cvt_u32_f32_e32 v2, v2
	v_readfirstlane_b32 s10, v2
	s_cbranch_vccnz .LBB40_14
; %bb.1:
	s_not_b32 s3, s3
	s_mul_i32 s3, s3, s10
	s_mul_hi_u32 s3, s10, s3
	s_add_i32 s10, s10, s3
	s_mul_hi_u32 s3, s6, s10
	s_mul_i32 s10, s3, s7
	s_sub_i32 s10, s6, s10
	s_add_i32 s11, s3, 1
	s_sub_i32 s12, s10, s7
	s_cmp_ge_u32 s10, s7
	s_cselect_b32 s3, s11, s3
	s_load_dwordx2 s[14:15], s[4:5], 0x58
	s_load_dwordx2 s[16:17], s[4:5], 0x38
	s_cselect_b32 s10, s12, s10
	s_add_i32 s11, s3, 1
	s_cmp_ge_u32 s10, s7
	s_cselect_b32 s3, s11, s3
	s_mul_i32 s7, s3, s7
	s_sub_i32 s10, s6, s7
	s_lshl_b64 s[12:13], s[8:9], 3
	s_waitcnt lgkmcnt(0)
	s_add_u32 s6, s16, s12
	s_addc_u32 s7, s17, s13
	s_add_u32 s8, s14, s12
	s_addc_u32 s9, s15, s13
	s_load_dwordx2 s[6:7], s[6:7], 0x0
	v_lshl_add_u32 v2, s10, 5, v0
	s_load_dwordx2 s[8:9], s[8:9], 0x0
	v_cmp_eq_u32_e32 vcc, 0, v1
	s_and_saveexec_b64 s[10:11], vcc
	s_cbranch_execz .LBB40_5
; %bb.2:
	v_cmp_gt_i32_e32 vcc, s0, v2
	v_mov_b32_e32 v3, 0
	s_and_saveexec_b64 s[14:15], vcc
	s_cbranch_execz .LBB40_4
; %bb.3:
	s_load_dwordx2 s[20:21], s[4:5], 0x18
	s_load_dwordx4 s[16:19], s[4:5], 0x20
	v_ashrrev_i32_e32 v3, 31, v2
	s_waitcnt lgkmcnt(0)
	s_add_u32 s12, s20, s12
	s_addc_u32 s13, s21, s13
	v_mul_lo_u32 v5, s19, v2
	v_mul_lo_u32 v6, s18, v3
	v_mad_u64_u32 v[3:4], s[18:19], s18, v2, 0
	s_load_dwordx2 s[12:13], s[12:13], 0x0
	s_lshl_b64 s[16:17], s[16:17], 2
	v_add3_u32 v4, v4, v6, v5
	v_lshlrev_b64 v[3:4], 2, v[3:4]
	s_waitcnt lgkmcnt(0)
	s_add_u32 s12, s12, s16
	s_addc_u32 s13, s13, s17
	v_mov_b32_e32 v5, s13
	v_add_co_u32_e32 v3, vcc, s12, v3
	v_addc_co_u32_e32 v4, vcc, v5, v4, vcc
	flat_load_dword v3, v[3:4]
.LBB40_4:
	s_or_b64 exec, exec, s[14:15]
	v_lshlrev_b32_e32 v4, 2, v0
	s_waitcnt vmcnt(0) lgkmcnt(0)
	ds_write_b32 v4, v3 offset:256
.LBB40_5:
	s_or_b64 exec, exec, s[10:11]
	v_lshlrev_b32_e32 v3, 1, v1
	v_lshl_add_u32 v1, s3, 6, v3
	v_cmp_gt_u32_e32 vcc, 2, v0
	s_and_saveexec_b64 s[10:11], vcc
	s_cbranch_execz .LBB40_9
; %bb.6:
	v_or_b32_e32 v4, v1, v0
	v_cmp_gt_u32_e32 vcc, s1, v4
	v_mov_b32_e32 v5, 0
	s_and_saveexec_b64 s[12:13], vcc
	s_cbranch_execz .LBB40_8
; %bb.7:
	s_load_dwordx4 s[16:19], s[4:5], 0x40
	s_waitcnt lgkmcnt(0)
	v_mad_u64_u32 v[5:6], s[14:15], s18, v4, 0
	s_lshl_b64 s[14:15], s[16:17], 2
	s_add_u32 s3, s6, s14
	v_mad_u64_u32 v[6:7], s[16:17], s19, v4, v[6:7]
	s_addc_u32 s6, s7, s15
	v_mov_b32_e32 v7, s6
	v_lshlrev_b64 v[4:5], 2, v[5:6]
	v_add_co_u32_e32 v4, vcc, s3, v4
	v_addc_co_u32_e32 v5, vcc, v7, v5, vcc
	flat_load_dword v5, v[4:5]
.LBB40_8:
	s_or_b64 exec, exec, s[12:13]
	v_lshlrev_b32_e32 v4, 2, v0
	v_lshl_add_u32 v4, v3, 2, v4
	s_waitcnt vmcnt(0) lgkmcnt(0)
	ds_write_b32 v4, v5
.LBB40_9:
	s_or_b64 exec, exec, s[10:11]
	v_cmp_gt_i32_e32 vcc, s0, v2
	s_waitcnt lgkmcnt(0)
	s_barrier
	s_and_saveexec_b64 s[6:7], vcc
	s_cbranch_execz .LBB40_14
; %bb.10:
	s_load_dwordx4 s[4:7], s[4:5], 0x60
	v_lshlrev_b32_e32 v0, 2, v0
	ds_read_b32 v4, v0 offset:256
	v_lshlrev_b32_e32 v0, 2, v3
	v_ashrrev_i32_e32 v3, 31, v2
	s_waitcnt lgkmcnt(0)
	s_lshl_b64 s[4:5], s[4:5], 2
	s_add_u32 s0, s8, s4
	v_lshlrev_b64 v[2:3], 2, v[2:3]
	v_mul_f32_e32 v4, s2, v4
	s_addc_u32 s2, s9, s5
	v_mov_b32_e32 v5, s2
	v_add_co_u32_e32 v2, vcc, s0, v2
	v_addc_co_u32_e32 v3, vcc, v5, v3, vcc
	v_cmp_gt_i32_e32 vcc, s1, v1
	s_and_saveexec_b64 s[2:3], vcc
	s_cbranch_execz .LBB40_12
; %bb.11:
	v_ashrrev_i32_e32 v7, 31, v1
	v_mul_lo_u32 v8, s7, v1
	v_mad_u64_u32 v[5:6], s[4:5], s6, v1, 0
	v_mul_lo_u32 v7, s6, v7
	v_add3_u32 v6, v6, v7, v8
	v_lshlrev_b64 v[5:6], 2, v[5:6]
	ds_read_b32 v8, v0
	v_add_co_u32_e32 v5, vcc, v2, v5
	v_addc_co_u32_e32 v6, vcc, v3, v6, vcc
	flat_load_dword v7, v[5:6]
	s_waitcnt vmcnt(0) lgkmcnt(0)
	v_fmac_f32_e32 v7, v4, v8
	flat_store_dword v[5:6], v7
.LBB40_12:
	s_or_b64 exec, exec, s[2:3]
	v_or_b32_e32 v1, 1, v1
	v_cmp_gt_i32_e32 vcc, s1, v1
	s_and_b64 exec, exec, vcc
	s_cbranch_execz .LBB40_14
; %bb.13:
	v_ashrrev_i32_e32 v7, 31, v1
	v_mul_lo_u32 v8, s7, v1
	v_mad_u64_u32 v[5:6], s[0:1], s6, v1, 0
	v_mul_lo_u32 v1, s6, v7
	ds_read_b32 v0, v0 offset:4
	v_add3_u32 v6, v6, v1, v8
	v_lshlrev_b64 v[5:6], 2, v[5:6]
	v_add_co_u32_e32 v1, vcc, v2, v5
	v_addc_co_u32_e32 v2, vcc, v3, v6, vcc
	flat_load_dword v3, v[1:2]
	s_waitcnt vmcnt(0) lgkmcnt(0)
	v_fmac_f32_e32 v3, v4, v0
	flat_store_dword v[1:2], v3
.LBB40_14:
	s_endpgm
	.section	.rodata,"a",@progbits
	.p2align	6, 0x0
	.amdhsa_kernel _ZL18rocblas_ger_kernelILi32ELi32ELi2ELb0EffPKPKfPKPfEviiT4_lT5_lllS8_lllT6_lmli
		.amdhsa_group_segment_fixed_size 384
		.amdhsa_private_segment_fixed_size 0
		.amdhsa_kernarg_size 124
		.amdhsa_user_sgpr_count 6
		.amdhsa_user_sgpr_private_segment_buffer 1
		.amdhsa_user_sgpr_dispatch_ptr 0
		.amdhsa_user_sgpr_queue_ptr 0
		.amdhsa_user_sgpr_kernarg_segment_ptr 1
		.amdhsa_user_sgpr_dispatch_id 0
		.amdhsa_user_sgpr_flat_scratch_init 0
		.amdhsa_user_sgpr_private_segment_size 0
		.amdhsa_uses_dynamic_stack 0
		.amdhsa_system_sgpr_private_segment_wavefront_offset 0
		.amdhsa_system_sgpr_workgroup_id_x 1
		.amdhsa_system_sgpr_workgroup_id_y 0
		.amdhsa_system_sgpr_workgroup_id_z 1
		.amdhsa_system_sgpr_workgroup_info 0
		.amdhsa_system_vgpr_workitem_id 1
		.amdhsa_next_free_vgpr 9
		.amdhsa_next_free_sgpr 22
		.amdhsa_reserve_vcc 1
		.amdhsa_reserve_flat_scratch 0
		.amdhsa_float_round_mode_32 0
		.amdhsa_float_round_mode_16_64 0
		.amdhsa_float_denorm_mode_32 3
		.amdhsa_float_denorm_mode_16_64 3
		.amdhsa_dx10_clamp 1
		.amdhsa_ieee_mode 1
		.amdhsa_fp16_overflow 0
		.amdhsa_exception_fp_ieee_invalid_op 0
		.amdhsa_exception_fp_denorm_src 0
		.amdhsa_exception_fp_ieee_div_zero 0
		.amdhsa_exception_fp_ieee_overflow 0
		.amdhsa_exception_fp_ieee_underflow 0
		.amdhsa_exception_fp_ieee_inexact 0
		.amdhsa_exception_int_div_zero 0
	.end_amdhsa_kernel
	.section	.text._ZL18rocblas_ger_kernelILi32ELi32ELi2ELb0EffPKPKfPKPfEviiT4_lT5_lllS8_lllT6_lmli,"axG",@progbits,_ZL18rocblas_ger_kernelILi32ELi32ELi2ELb0EffPKPKfPKPfEviiT4_lT5_lllS8_lllT6_lmli,comdat
.Lfunc_end40:
	.size	_ZL18rocblas_ger_kernelILi32ELi32ELi2ELb0EffPKPKfPKPfEviiT4_lT5_lllS8_lllT6_lmli, .Lfunc_end40-_ZL18rocblas_ger_kernelILi32ELi32ELi2ELb0EffPKPKfPKPfEviiT4_lT5_lllS8_lllT6_lmli
                                        ; -- End function
	.set _ZL18rocblas_ger_kernelILi32ELi32ELi2ELb0EffPKPKfPKPfEviiT4_lT5_lllS8_lllT6_lmli.num_vgpr, 9
	.set _ZL18rocblas_ger_kernelILi32ELi32ELi2ELb0EffPKPKfPKPfEviiT4_lT5_lllS8_lllT6_lmli.num_agpr, 0
	.set _ZL18rocblas_ger_kernelILi32ELi32ELi2ELb0EffPKPKfPKPfEviiT4_lT5_lllS8_lllT6_lmli.numbered_sgpr, 22
	.set _ZL18rocblas_ger_kernelILi32ELi32ELi2ELb0EffPKPKfPKPfEviiT4_lT5_lllS8_lllT6_lmli.num_named_barrier, 0
	.set _ZL18rocblas_ger_kernelILi32ELi32ELi2ELb0EffPKPKfPKPfEviiT4_lT5_lllS8_lllT6_lmli.private_seg_size, 0
	.set _ZL18rocblas_ger_kernelILi32ELi32ELi2ELb0EffPKPKfPKPfEviiT4_lT5_lllS8_lllT6_lmli.uses_vcc, 1
	.set _ZL18rocblas_ger_kernelILi32ELi32ELi2ELb0EffPKPKfPKPfEviiT4_lT5_lllS8_lllT6_lmli.uses_flat_scratch, 0
	.set _ZL18rocblas_ger_kernelILi32ELi32ELi2ELb0EffPKPKfPKPfEviiT4_lT5_lllS8_lllT6_lmli.has_dyn_sized_stack, 0
	.set _ZL18rocblas_ger_kernelILi32ELi32ELi2ELb0EffPKPKfPKPfEviiT4_lT5_lllS8_lllT6_lmli.has_recursion, 0
	.set _ZL18rocblas_ger_kernelILi32ELi32ELi2ELb0EffPKPKfPKPfEviiT4_lT5_lllS8_lllT6_lmli.has_indirect_call, 0
	.section	.AMDGPU.csdata,"",@progbits
; Kernel info:
; codeLenInByte = 820
; TotalNumSgprs: 26
; NumVgprs: 9
; ScratchSize: 0
; MemoryBound: 0
; FloatMode: 240
; IeeeMode: 1
; LDSByteSize: 384 bytes/workgroup (compile time only)
; SGPRBlocks: 3
; VGPRBlocks: 2
; NumSGPRsForWavesPerEU: 26
; NumVGPRsForWavesPerEU: 9
; Occupancy: 10
; WaveLimiterHint : 1
; COMPUTE_PGM_RSRC2:SCRATCH_EN: 0
; COMPUTE_PGM_RSRC2:USER_SGPR: 6
; COMPUTE_PGM_RSRC2:TRAP_HANDLER: 0
; COMPUTE_PGM_RSRC2:TGID_X_EN: 1
; COMPUTE_PGM_RSRC2:TGID_Y_EN: 0
; COMPUTE_PGM_RSRC2:TGID_Z_EN: 1
; COMPUTE_PGM_RSRC2:TIDIG_COMP_CNT: 1
	.section	.text._ZL34rocblas_ger_double_buffered_kernelILb0ELi64ELi16ELi2Ed24rocblas_internal_val_ptrIdEPKPKdPKPdEvbiiT4_lT5_lllSA_lllT6_lmli,"axG",@progbits,_ZL34rocblas_ger_double_buffered_kernelILb0ELi64ELi16ELi2Ed24rocblas_internal_val_ptrIdEPKPKdPKPdEvbiiT4_lT5_lllSA_lllT6_lmli,comdat
	.globl	_ZL34rocblas_ger_double_buffered_kernelILb0ELi64ELi16ELi2Ed24rocblas_internal_val_ptrIdEPKPKdPKPdEvbiiT4_lT5_lllSA_lllT6_lmli ; -- Begin function _ZL34rocblas_ger_double_buffered_kernelILb0ELi64ELi16ELi2Ed24rocblas_internal_val_ptrIdEPKPKdPKPdEvbiiT4_lT5_lllSA_lllT6_lmli
	.p2align	8
	.type	_ZL34rocblas_ger_double_buffered_kernelILb0ELi64ELi16ELi2Ed24rocblas_internal_val_ptrIdEPKPKdPKPdEvbiiT4_lT5_lllSA_lllT6_lmli,@function
_ZL34rocblas_ger_double_buffered_kernelILb0ELi64ELi16ELi2Ed24rocblas_internal_val_ptrIdEPKPKdPKPdEvbiiT4_lT5_lllSA_lllT6_lmli: ; @_ZL34rocblas_ger_double_buffered_kernelILb0ELi64ELi16ELi2Ed24rocblas_internal_val_ptrIdEPKPKdPKPdEvbiiT4_lT5_lllSA_lllT6_lmli
; %bb.0:
	s_load_dword s9, s[4:5], 0x0
	s_load_dwordx4 s[0:3], s[4:5], 0x10
	s_waitcnt lgkmcnt(0)
	s_bitcmp1_b32 s9, 0
	s_cselect_b64 s[10:11], -1, 0
	v_mov_b32_e32 v3, s1
	s_and_b64 vcc, exec, s[10:11]
	v_mov_b32_e32 v2, s0
	s_cbranch_vccz .LBB41_3
; %bb.1:
	v_cmp_neq_f64_e32 vcc, 0, v[2:3]
	s_and_saveexec_b64 s[0:1], vcc
	s_cbranch_execnz .LBB41_4
.LBB41_2:
	s_endpgm
.LBB41_3:
	s_mul_i32 s3, s3, s8
	s_mul_hi_u32 s9, s2, s8
	s_add_i32 s3, s9, s3
	s_mul_i32 s2, s2, s8
	s_lshl_b64 s[2:3], s[2:3], 3
	s_add_u32 s0, s0, s2
	s_addc_u32 s1, s1, s3
	v_mov_b32_e32 v3, s1
	v_mov_b32_e32 v2, s0
	flat_load_dwordx2 v[2:3], v[2:3]
	s_waitcnt vmcnt(0) lgkmcnt(0)
	v_cmp_neq_f64_e32 vcc, 0, v[2:3]
	s_and_saveexec_b64 s[0:1], vcc
	s_cbranch_execz .LBB41_2
.LBB41_4:
	s_load_dwordx2 s[10:11], s[4:5], 0x60
	s_load_dwordx4 s[0:3], s[4:5], 0x68
	s_mov_b32 s9, 0
	s_lshl_b64 s[16:17], s[8:9], 3
	v_and_b32_e32 v9, 31, v0
	s_waitcnt lgkmcnt(0)
	s_add_u32 s18, s10, s16
	s_addc_u32 s19, s11, s17
	s_load_dwordx2 s[20:21], s[18:19], 0x0
	s_load_dwordx2 s[22:23], s[4:5], 0x20
	s_load_dwordx4 s[12:15], s[4:5], 0x28
	s_load_dwordx2 s[24:25], s[4:5], 0x40
	s_load_dwordx4 s[8:11], s[4:5], 0x48
	s_lshl_b64 s[0:1], s[0:1], 3
	s_waitcnt lgkmcnt(0)
	s_add_u32 s18, s20, s0
	s_addc_u32 s19, s21, s1
	s_add_u32 s0, s24, s16
	s_addc_u32 s1, s25, s17
	;; [unrolled: 2-line block ×3, first 2 shown]
	s_load_dwordx2 s[4:5], s[4:5], 0x0
	s_lshl_b64 s[12:13], s[12:13], 3
	v_or_b32_e32 v8, 32, v9
	v_lshl_add_u32 v0, v1, 6, v0
	v_lshrrev_b32_e32 v0, 4, v0
	s_waitcnt lgkmcnt(0)
	s_add_u32 s16, s4, s12
	s_addc_u32 s17, s5, s13
	s_lshl_b32 s4, s6, 6
	s_ashr_i32 s5, s4, 31
	s_lshl_b64 s[12:13], s[4:5], 3
	s_add_u32 s12, s18, s12
	s_addc_u32 s13, s19, s13
	s_lshl_b32 s18, s7, 6
	s_ashr_i32 s19, s18, 31
	s_mul_i32 s6, s2, s19
	s_mul_hi_u32 s7, s2, s18
	s_add_i32 s6, s7, s6
	s_mul_i32 s7, s3, s18
	s_add_i32 s7, s6, s7
	s_mul_i32 s6, s2, s18
	s_lshl_b64 s[6:7], s[6:7], 3
	s_add_u32 s12, s12, s6
	s_mul_i32 s5, s14, s5
	s_mul_hi_u32 s6, s14, s4
	s_addc_u32 s13, s13, s7
	s_add_i32 s5, s6, s5
	v_mad_u64_u32 v[4:5], s[6:7], s14, v9, 0
	s_mul_i32 s6, s15, s4
	s_add_i32 s5, s5, s6
	v_mad_u64_u32 v[5:6], s[6:7], s15, v9, v[5:6]
	s_mul_i32 s4, s14, s4
	s_lshl_b64 s[4:5], s[4:5], 3
	s_add_u32 s6, s16, s4
	v_lshlrev_b64 v[4:5], 3, v[4:5]
	s_addc_u32 s7, s17, s5
	v_mov_b32_e32 v6, s7
	v_add_co_u32_e32 v4, vcc, s6, v4
	v_addc_co_u32_e32 v5, vcc, v6, v5, vcc
	v_mad_u64_u32 v[6:7], s[4:5], s14, v8, 0
	flat_load_dwordx2 v[4:5], v[4:5]
	v_and_b32_e32 v14, 0x1ffe, v0
	v_mad_u64_u32 v[7:8], s[4:5], s15, v8, v[7:8]
	v_mov_b32_e32 v8, s7
	v_or_b32_e32 v16, 1, v0
	v_lshlrev_b64 v[6:7], 3, v[6:7]
	v_mad_u64_u32 v[0:1], s[4:5], s2, v14, 0
	v_add_co_u32_e32 v6, vcc, s6, v6
	v_addc_co_u32_e32 v7, vcc, v8, v7, vcc
	flat_load_dwordx2 v[6:7], v[6:7]
	v_lshlrev_b32_e32 v15, 3, v9
	v_mad_u64_u32 v[8:9], s[4:5], s10, v14, 0
	v_mad_u64_u32 v[12:13], s[4:5], s3, v14, v[1:2]
	v_mov_b32_e32 v1, v9
	v_mad_u64_u32 v[13:14], s[4:5], s11, v14, v[1:2]
	v_mov_b32_e32 v1, v12
	v_lshlrev_b64 v[0:1], 3, v[0:1]
	s_load_dwordx2 s[0:1], s[0:1], 0x0
	v_mad_u64_u32 v[10:11], s[4:5], s10, v16, 0
	v_mov_b32_e32 v9, s13
	v_add_co_u32_e32 v0, vcc, s12, v0
	s_mul_hi_u32 s5, s10, s18
	s_mul_i32 s6, s10, s19
	v_addc_co_u32_e32 v1, vcc, v9, v1, vcc
	s_mul_i32 s14, s11, s18
	v_add_co_u32_e32 v0, vcc, v0, v15
	s_add_i32 s5, s5, s6
	v_addc_co_u32_e32 v1, vcc, 0, v1, vcc
	s_lshl_b64 s[2:3], s[2:3], 3
	s_lshl_b64 s[6:7], s[8:9], 3
	s_add_i32 s5, s5, s14
	s_mul_i32 s4, s10, s18
	v_add_co_u32_e32 v14, vcc, s2, v0
	s_waitcnt lgkmcnt(0)
	s_add_u32 s2, s0, s6
	v_mov_b32_e32 v9, s3
	s_addc_u32 s3, s1, s7
	s_lshl_b64 s[0:1], s[4:5], 3
	s_add_u32 s2, s2, s0
	s_addc_u32 s3, s3, s1
	v_mad_u64_u32 v[11:12], s[0:1], s11, v16, v[11:12]
	v_addc_co_u32_e32 v15, vcc, v1, v9, vcc
	v_mov_b32_e32 v9, v13
	v_lshlrev_b64 v[8:9], 3, v[8:9]
	v_mov_b32_e32 v13, s3
	v_add_co_u32_e32 v8, vcc, s2, v8
	v_lshlrev_b64 v[10:11], 3, v[10:11]
	v_addc_co_u32_e32 v9, vcc, v13, v9, vcc
	v_mov_b32_e32 v12, s3
	v_add_co_u32_e32 v10, vcc, s2, v10
	v_addc_co_u32_e32 v11, vcc, v12, v11, vcc
	flat_load_dwordx2 v[12:13], v[8:9]
	flat_load_dwordx2 v[16:17], v[10:11]
	s_waitcnt vmcnt(0)
	v_mul_f64 v[4:5], v[2:3], v[4:5]
	v_mul_f64 v[2:3], v[2:3], v[6:7]
	flat_load_dwordx2 v[6:7], v[0:1]
	flat_load_dwordx2 v[8:9], v[14:15]
	flat_load_dwordx2 v[10:11], v[14:15] offset:256
	flat_load_dwordx2 v[18:19], v[0:1] offset:256
	s_waitcnt vmcnt(0) lgkmcnt(0)
	v_fma_f64 v[6:7], v[4:5], v[12:13], v[6:7]
	v_fma_f64 v[4:5], v[4:5], v[16:17], v[8:9]
	;; [unrolled: 1-line block ×4, first 2 shown]
	flat_store_dwordx2 v[0:1], v[6:7]
	flat_store_dwordx2 v[14:15], v[4:5]
	flat_store_dwordx2 v[0:1], v[8:9] offset:256
	flat_store_dwordx2 v[14:15], v[2:3] offset:256
	s_endpgm
	.section	.rodata,"a",@progbits
	.p2align	6, 0x0
	.amdhsa_kernel _ZL34rocblas_ger_double_buffered_kernelILb0ELi64ELi16ELi2Ed24rocblas_internal_val_ptrIdEPKPKdPKPdEvbiiT4_lT5_lllSA_lllT6_lmli
		.amdhsa_group_segment_fixed_size 0
		.amdhsa_private_segment_fixed_size 0
		.amdhsa_kernarg_size 132
		.amdhsa_user_sgpr_count 6
		.amdhsa_user_sgpr_private_segment_buffer 1
		.amdhsa_user_sgpr_dispatch_ptr 0
		.amdhsa_user_sgpr_queue_ptr 0
		.amdhsa_user_sgpr_kernarg_segment_ptr 1
		.amdhsa_user_sgpr_dispatch_id 0
		.amdhsa_user_sgpr_flat_scratch_init 0
		.amdhsa_user_sgpr_private_segment_size 0
		.amdhsa_uses_dynamic_stack 0
		.amdhsa_system_sgpr_private_segment_wavefront_offset 0
		.amdhsa_system_sgpr_workgroup_id_x 1
		.amdhsa_system_sgpr_workgroup_id_y 1
		.amdhsa_system_sgpr_workgroup_id_z 1
		.amdhsa_system_sgpr_workgroup_info 0
		.amdhsa_system_vgpr_workitem_id 1
		.amdhsa_next_free_vgpr 20
		.amdhsa_next_free_sgpr 26
		.amdhsa_reserve_vcc 1
		.amdhsa_reserve_flat_scratch 0
		.amdhsa_float_round_mode_32 0
		.amdhsa_float_round_mode_16_64 0
		.amdhsa_float_denorm_mode_32 3
		.amdhsa_float_denorm_mode_16_64 3
		.amdhsa_dx10_clamp 1
		.amdhsa_ieee_mode 1
		.amdhsa_fp16_overflow 0
		.amdhsa_exception_fp_ieee_invalid_op 0
		.amdhsa_exception_fp_denorm_src 0
		.amdhsa_exception_fp_ieee_div_zero 0
		.amdhsa_exception_fp_ieee_overflow 0
		.amdhsa_exception_fp_ieee_underflow 0
		.amdhsa_exception_fp_ieee_inexact 0
		.amdhsa_exception_int_div_zero 0
	.end_amdhsa_kernel
	.section	.text._ZL34rocblas_ger_double_buffered_kernelILb0ELi64ELi16ELi2Ed24rocblas_internal_val_ptrIdEPKPKdPKPdEvbiiT4_lT5_lllSA_lllT6_lmli,"axG",@progbits,_ZL34rocblas_ger_double_buffered_kernelILb0ELi64ELi16ELi2Ed24rocblas_internal_val_ptrIdEPKPKdPKPdEvbiiT4_lT5_lllSA_lllT6_lmli,comdat
.Lfunc_end41:
	.size	_ZL34rocblas_ger_double_buffered_kernelILb0ELi64ELi16ELi2Ed24rocblas_internal_val_ptrIdEPKPKdPKPdEvbiiT4_lT5_lllSA_lllT6_lmli, .Lfunc_end41-_ZL34rocblas_ger_double_buffered_kernelILb0ELi64ELi16ELi2Ed24rocblas_internal_val_ptrIdEPKPKdPKPdEvbiiT4_lT5_lllSA_lllT6_lmli
                                        ; -- End function
	.set _ZL34rocblas_ger_double_buffered_kernelILb0ELi64ELi16ELi2Ed24rocblas_internal_val_ptrIdEPKPKdPKPdEvbiiT4_lT5_lllSA_lllT6_lmli.num_vgpr, 20
	.set _ZL34rocblas_ger_double_buffered_kernelILb0ELi64ELi16ELi2Ed24rocblas_internal_val_ptrIdEPKPKdPKPdEvbiiT4_lT5_lllSA_lllT6_lmli.num_agpr, 0
	.set _ZL34rocblas_ger_double_buffered_kernelILb0ELi64ELi16ELi2Ed24rocblas_internal_val_ptrIdEPKPKdPKPdEvbiiT4_lT5_lllSA_lllT6_lmli.numbered_sgpr, 26
	.set _ZL34rocblas_ger_double_buffered_kernelILb0ELi64ELi16ELi2Ed24rocblas_internal_val_ptrIdEPKPKdPKPdEvbiiT4_lT5_lllSA_lllT6_lmli.num_named_barrier, 0
	.set _ZL34rocblas_ger_double_buffered_kernelILb0ELi64ELi16ELi2Ed24rocblas_internal_val_ptrIdEPKPKdPKPdEvbiiT4_lT5_lllSA_lllT6_lmli.private_seg_size, 0
	.set _ZL34rocblas_ger_double_buffered_kernelILb0ELi64ELi16ELi2Ed24rocblas_internal_val_ptrIdEPKPKdPKPdEvbiiT4_lT5_lllSA_lllT6_lmli.uses_vcc, 1
	.set _ZL34rocblas_ger_double_buffered_kernelILb0ELi64ELi16ELi2Ed24rocblas_internal_val_ptrIdEPKPKdPKPdEvbiiT4_lT5_lllSA_lllT6_lmli.uses_flat_scratch, 0
	.set _ZL34rocblas_ger_double_buffered_kernelILb0ELi64ELi16ELi2Ed24rocblas_internal_val_ptrIdEPKPKdPKPdEvbiiT4_lT5_lllSA_lllT6_lmli.has_dyn_sized_stack, 0
	.set _ZL34rocblas_ger_double_buffered_kernelILb0ELi64ELi16ELi2Ed24rocblas_internal_val_ptrIdEPKPKdPKPdEvbiiT4_lT5_lllSA_lllT6_lmli.has_recursion, 0
	.set _ZL34rocblas_ger_double_buffered_kernelILb0ELi64ELi16ELi2Ed24rocblas_internal_val_ptrIdEPKPKdPKPdEvbiiT4_lT5_lllSA_lllT6_lmli.has_indirect_call, 0
	.section	.AMDGPU.csdata,"",@progbits
; Kernel info:
; codeLenInByte = 820
; TotalNumSgprs: 30
; NumVgprs: 20
; ScratchSize: 0
; MemoryBound: 0
; FloatMode: 240
; IeeeMode: 1
; LDSByteSize: 0 bytes/workgroup (compile time only)
; SGPRBlocks: 3
; VGPRBlocks: 4
; NumSGPRsForWavesPerEU: 30
; NumVGPRsForWavesPerEU: 20
; Occupancy: 10
; WaveLimiterHint : 1
; COMPUTE_PGM_RSRC2:SCRATCH_EN: 0
; COMPUTE_PGM_RSRC2:USER_SGPR: 6
; COMPUTE_PGM_RSRC2:TRAP_HANDLER: 0
; COMPUTE_PGM_RSRC2:TGID_X_EN: 1
; COMPUTE_PGM_RSRC2:TGID_Y_EN: 1
; COMPUTE_PGM_RSRC2:TGID_Z_EN: 1
; COMPUTE_PGM_RSRC2:TIDIG_COMP_CNT: 1
	.section	.text._ZL26rocblas_sger_gfx942_kernelILi256EdPKdPKS1_PKPdEviiT1_lT2_lllS8_lllT3_lll,"axG",@progbits,_ZL26rocblas_sger_gfx942_kernelILi256EdPKdPKS1_PKPdEviiT1_lT2_lllS8_lllT3_lll,comdat
	.globl	_ZL26rocblas_sger_gfx942_kernelILi256EdPKdPKS1_PKPdEviiT1_lT2_lllS8_lllT3_lll ; -- Begin function _ZL26rocblas_sger_gfx942_kernelILi256EdPKdPKS1_PKPdEviiT1_lT2_lllS8_lllT3_lll
	.p2align	8
	.type	_ZL26rocblas_sger_gfx942_kernelILi256EdPKdPKS1_PKPdEviiT1_lT2_lllS8_lllT3_lll,@function
_ZL26rocblas_sger_gfx942_kernelILi256EdPKdPKS1_PKPdEviiT1_lT2_lllS8_lllT3_lll: ; @_ZL26rocblas_sger_gfx942_kernelILi256EdPKdPKS1_PKPdEviiT1_lT2_lllS8_lllT3_lll
; %bb.0:
	s_endpgm
	.section	.rodata,"a",@progbits
	.p2align	6, 0x0
	.amdhsa_kernel _ZL26rocblas_sger_gfx942_kernelILi256EdPKdPKS1_PKPdEviiT1_lT2_lllS8_lllT3_lll
		.amdhsa_group_segment_fixed_size 0
		.amdhsa_private_segment_fixed_size 0
		.amdhsa_kernarg_size 120
		.amdhsa_user_sgpr_count 6
		.amdhsa_user_sgpr_private_segment_buffer 1
		.amdhsa_user_sgpr_dispatch_ptr 0
		.amdhsa_user_sgpr_queue_ptr 0
		.amdhsa_user_sgpr_kernarg_segment_ptr 1
		.amdhsa_user_sgpr_dispatch_id 0
		.amdhsa_user_sgpr_flat_scratch_init 0
		.amdhsa_user_sgpr_private_segment_size 0
		.amdhsa_uses_dynamic_stack 0
		.amdhsa_system_sgpr_private_segment_wavefront_offset 0
		.amdhsa_system_sgpr_workgroup_id_x 1
		.amdhsa_system_sgpr_workgroup_id_y 0
		.amdhsa_system_sgpr_workgroup_id_z 0
		.amdhsa_system_sgpr_workgroup_info 0
		.amdhsa_system_vgpr_workitem_id 0
		.amdhsa_next_free_vgpr 1
		.amdhsa_next_free_sgpr 0
		.amdhsa_reserve_vcc 0
		.amdhsa_reserve_flat_scratch 0
		.amdhsa_float_round_mode_32 0
		.amdhsa_float_round_mode_16_64 0
		.amdhsa_float_denorm_mode_32 3
		.amdhsa_float_denorm_mode_16_64 3
		.amdhsa_dx10_clamp 1
		.amdhsa_ieee_mode 1
		.amdhsa_fp16_overflow 0
		.amdhsa_exception_fp_ieee_invalid_op 0
		.amdhsa_exception_fp_denorm_src 0
		.amdhsa_exception_fp_ieee_div_zero 0
		.amdhsa_exception_fp_ieee_overflow 0
		.amdhsa_exception_fp_ieee_underflow 0
		.amdhsa_exception_fp_ieee_inexact 0
		.amdhsa_exception_int_div_zero 0
	.end_amdhsa_kernel
	.section	.text._ZL26rocblas_sger_gfx942_kernelILi256EdPKdPKS1_PKPdEviiT1_lT2_lllS8_lllT3_lll,"axG",@progbits,_ZL26rocblas_sger_gfx942_kernelILi256EdPKdPKS1_PKPdEviiT1_lT2_lllS8_lllT3_lll,comdat
.Lfunc_end42:
	.size	_ZL26rocblas_sger_gfx942_kernelILi256EdPKdPKS1_PKPdEviiT1_lT2_lllS8_lllT3_lll, .Lfunc_end42-_ZL26rocblas_sger_gfx942_kernelILi256EdPKdPKS1_PKPdEviiT1_lT2_lllS8_lllT3_lll
                                        ; -- End function
	.set _ZL26rocblas_sger_gfx942_kernelILi256EdPKdPKS1_PKPdEviiT1_lT2_lllS8_lllT3_lll.num_vgpr, 0
	.set _ZL26rocblas_sger_gfx942_kernelILi256EdPKdPKS1_PKPdEviiT1_lT2_lllS8_lllT3_lll.num_agpr, 0
	.set _ZL26rocblas_sger_gfx942_kernelILi256EdPKdPKS1_PKPdEviiT1_lT2_lllS8_lllT3_lll.numbered_sgpr, 0
	.set _ZL26rocblas_sger_gfx942_kernelILi256EdPKdPKS1_PKPdEviiT1_lT2_lllS8_lllT3_lll.num_named_barrier, 0
	.set _ZL26rocblas_sger_gfx942_kernelILi256EdPKdPKS1_PKPdEviiT1_lT2_lllS8_lllT3_lll.private_seg_size, 0
	.set _ZL26rocblas_sger_gfx942_kernelILi256EdPKdPKS1_PKPdEviiT1_lT2_lllS8_lllT3_lll.uses_vcc, 0
	.set _ZL26rocblas_sger_gfx942_kernelILi256EdPKdPKS1_PKPdEviiT1_lT2_lllS8_lllT3_lll.uses_flat_scratch, 0
	.set _ZL26rocblas_sger_gfx942_kernelILi256EdPKdPKS1_PKPdEviiT1_lT2_lllS8_lllT3_lll.has_dyn_sized_stack, 0
	.set _ZL26rocblas_sger_gfx942_kernelILi256EdPKdPKS1_PKPdEviiT1_lT2_lllS8_lllT3_lll.has_recursion, 0
	.set _ZL26rocblas_sger_gfx942_kernelILi256EdPKdPKS1_PKPdEviiT1_lT2_lllS8_lllT3_lll.has_indirect_call, 0
	.section	.AMDGPU.csdata,"",@progbits
; Kernel info:
; codeLenInByte = 4
; TotalNumSgprs: 4
; NumVgprs: 0
; ScratchSize: 0
; MemoryBound: 0
; FloatMode: 240
; IeeeMode: 1
; LDSByteSize: 0 bytes/workgroup (compile time only)
; SGPRBlocks: 0
; VGPRBlocks: 0
; NumSGPRsForWavesPerEU: 4
; NumVGPRsForWavesPerEU: 1
; Occupancy: 10
; WaveLimiterHint : 0
; COMPUTE_PGM_RSRC2:SCRATCH_EN: 0
; COMPUTE_PGM_RSRC2:USER_SGPR: 6
; COMPUTE_PGM_RSRC2:TRAP_HANDLER: 0
; COMPUTE_PGM_RSRC2:TGID_X_EN: 1
; COMPUTE_PGM_RSRC2:TGID_Y_EN: 0
; COMPUTE_PGM_RSRC2:TGID_Z_EN: 0
; COMPUTE_PGM_RSRC2:TIDIG_COMP_CNT: 0
	.section	.text._ZL26rocblas_sger_gfx942_kernelILi256EddPKPKdPKPdEviiT1_lT2_lllS8_lllT3_lll,"axG",@progbits,_ZL26rocblas_sger_gfx942_kernelILi256EddPKPKdPKPdEviiT1_lT2_lllS8_lllT3_lll,comdat
	.globl	_ZL26rocblas_sger_gfx942_kernelILi256EddPKPKdPKPdEviiT1_lT2_lllS8_lllT3_lll ; -- Begin function _ZL26rocblas_sger_gfx942_kernelILi256EddPKPKdPKPdEviiT1_lT2_lllS8_lllT3_lll
	.p2align	8
	.type	_ZL26rocblas_sger_gfx942_kernelILi256EddPKPKdPKPdEviiT1_lT2_lllS8_lllT3_lll,@function
_ZL26rocblas_sger_gfx942_kernelILi256EddPKPKdPKPdEviiT1_lT2_lllS8_lllT3_lll: ; @_ZL26rocblas_sger_gfx942_kernelILi256EddPKPKdPKPdEviiT1_lT2_lllS8_lllT3_lll
; %bb.0:
	s_endpgm
	.section	.rodata,"a",@progbits
	.p2align	6, 0x0
	.amdhsa_kernel _ZL26rocblas_sger_gfx942_kernelILi256EddPKPKdPKPdEviiT1_lT2_lllS8_lllT3_lll
		.amdhsa_group_segment_fixed_size 0
		.amdhsa_private_segment_fixed_size 0
		.amdhsa_kernarg_size 120
		.amdhsa_user_sgpr_count 6
		.amdhsa_user_sgpr_private_segment_buffer 1
		.amdhsa_user_sgpr_dispatch_ptr 0
		.amdhsa_user_sgpr_queue_ptr 0
		.amdhsa_user_sgpr_kernarg_segment_ptr 1
		.amdhsa_user_sgpr_dispatch_id 0
		.amdhsa_user_sgpr_flat_scratch_init 0
		.amdhsa_user_sgpr_private_segment_size 0
		.amdhsa_uses_dynamic_stack 0
		.amdhsa_system_sgpr_private_segment_wavefront_offset 0
		.amdhsa_system_sgpr_workgroup_id_x 1
		.amdhsa_system_sgpr_workgroup_id_y 0
		.amdhsa_system_sgpr_workgroup_id_z 0
		.amdhsa_system_sgpr_workgroup_info 0
		.amdhsa_system_vgpr_workitem_id 0
		.amdhsa_next_free_vgpr 1
		.amdhsa_next_free_sgpr 0
		.amdhsa_reserve_vcc 0
		.amdhsa_reserve_flat_scratch 0
		.amdhsa_float_round_mode_32 0
		.amdhsa_float_round_mode_16_64 0
		.amdhsa_float_denorm_mode_32 3
		.amdhsa_float_denorm_mode_16_64 3
		.amdhsa_dx10_clamp 1
		.amdhsa_ieee_mode 1
		.amdhsa_fp16_overflow 0
		.amdhsa_exception_fp_ieee_invalid_op 0
		.amdhsa_exception_fp_denorm_src 0
		.amdhsa_exception_fp_ieee_div_zero 0
		.amdhsa_exception_fp_ieee_overflow 0
		.amdhsa_exception_fp_ieee_underflow 0
		.amdhsa_exception_fp_ieee_inexact 0
		.amdhsa_exception_int_div_zero 0
	.end_amdhsa_kernel
	.section	.text._ZL26rocblas_sger_gfx942_kernelILi256EddPKPKdPKPdEviiT1_lT2_lllS8_lllT3_lll,"axG",@progbits,_ZL26rocblas_sger_gfx942_kernelILi256EddPKPKdPKPdEviiT1_lT2_lllS8_lllT3_lll,comdat
.Lfunc_end43:
	.size	_ZL26rocblas_sger_gfx942_kernelILi256EddPKPKdPKPdEviiT1_lT2_lllS8_lllT3_lll, .Lfunc_end43-_ZL26rocblas_sger_gfx942_kernelILi256EddPKPKdPKPdEviiT1_lT2_lllS8_lllT3_lll
                                        ; -- End function
	.set _ZL26rocblas_sger_gfx942_kernelILi256EddPKPKdPKPdEviiT1_lT2_lllS8_lllT3_lll.num_vgpr, 0
	.set _ZL26rocblas_sger_gfx942_kernelILi256EddPKPKdPKPdEviiT1_lT2_lllS8_lllT3_lll.num_agpr, 0
	.set _ZL26rocblas_sger_gfx942_kernelILi256EddPKPKdPKPdEviiT1_lT2_lllS8_lllT3_lll.numbered_sgpr, 0
	.set _ZL26rocblas_sger_gfx942_kernelILi256EddPKPKdPKPdEviiT1_lT2_lllS8_lllT3_lll.num_named_barrier, 0
	.set _ZL26rocblas_sger_gfx942_kernelILi256EddPKPKdPKPdEviiT1_lT2_lllS8_lllT3_lll.private_seg_size, 0
	.set _ZL26rocblas_sger_gfx942_kernelILi256EddPKPKdPKPdEviiT1_lT2_lllS8_lllT3_lll.uses_vcc, 0
	.set _ZL26rocblas_sger_gfx942_kernelILi256EddPKPKdPKPdEviiT1_lT2_lllS8_lllT3_lll.uses_flat_scratch, 0
	.set _ZL26rocblas_sger_gfx942_kernelILi256EddPKPKdPKPdEviiT1_lT2_lllS8_lllT3_lll.has_dyn_sized_stack, 0
	.set _ZL26rocblas_sger_gfx942_kernelILi256EddPKPKdPKPdEviiT1_lT2_lllS8_lllT3_lll.has_recursion, 0
	.set _ZL26rocblas_sger_gfx942_kernelILi256EddPKPKdPKPdEviiT1_lT2_lllS8_lllT3_lll.has_indirect_call, 0
	.section	.AMDGPU.csdata,"",@progbits
; Kernel info:
; codeLenInByte = 4
; TotalNumSgprs: 4
; NumVgprs: 0
; ScratchSize: 0
; MemoryBound: 0
; FloatMode: 240
; IeeeMode: 1
; LDSByteSize: 0 bytes/workgroup (compile time only)
; SGPRBlocks: 0
; VGPRBlocks: 0
; NumSGPRsForWavesPerEU: 4
; NumVGPRsForWavesPerEU: 1
; Occupancy: 10
; WaveLimiterHint : 0
; COMPUTE_PGM_RSRC2:SCRATCH_EN: 0
; COMPUTE_PGM_RSRC2:USER_SGPR: 6
; COMPUTE_PGM_RSRC2:TRAP_HANDLER: 0
; COMPUTE_PGM_RSRC2:TGID_X_EN: 1
; COMPUTE_PGM_RSRC2:TGID_Y_EN: 0
; COMPUTE_PGM_RSRC2:TGID_Z_EN: 0
; COMPUTE_PGM_RSRC2:TIDIG_COMP_CNT: 0
	.section	.text._ZL19rocblas_sger_kernelILi1024EdPKdPKS1_PKPdEviiT1_lT2_lllS8_lllT3_lmli,"axG",@progbits,_ZL19rocblas_sger_kernelILi1024EdPKdPKS1_PKPdEviiT1_lT2_lllS8_lllT3_lmli,comdat
	.globl	_ZL19rocblas_sger_kernelILi1024EdPKdPKS1_PKPdEviiT1_lT2_lllS8_lllT3_lmli ; -- Begin function _ZL19rocblas_sger_kernelILi1024EdPKdPKS1_PKPdEviiT1_lT2_lllS8_lllT3_lmli
	.p2align	8
	.type	_ZL19rocblas_sger_kernelILi1024EdPKdPKS1_PKPdEviiT1_lT2_lllS8_lllT3_lmli,@function
_ZL19rocblas_sger_kernelILi1024EdPKdPKS1_PKPdEviiT1_lT2_lllS8_lllT3_lmli: ; @_ZL19rocblas_sger_kernelILi1024EdPKdPKS1_PKPdEviiT1_lT2_lllS8_lllT3_lmli
; %bb.0:
	s_load_dwordx4 s[0:3], s[4:5], 0x8
	s_mov_b32 s14, s7
	s_waitcnt lgkmcnt(0)
	s_mul_i32 s3, s3, s7
	s_mul_hi_u32 s7, s2, s7
	s_add_i32 s3, s7, s3
	s_mul_i32 s2, s2, s14
	s_lshl_b64 s[2:3], s[2:3], 3
	s_add_u32 s0, s0, s2
	s_addc_u32 s1, s1, s3
	s_load_dwordx2 s[12:13], s[0:1], 0x0
	s_waitcnt lgkmcnt(0)
	v_cmp_eq_f64_e64 s[0:1], s[12:13], 0
	s_and_b64 vcc, exec, s[0:1]
	s_cbranch_vccnz .LBB44_4
; %bb.1:
	s_load_dword s7, s[4:5], 0x0
	s_waitcnt lgkmcnt(0)
	v_cmp_gt_i32_e32 vcc, s7, v0
	s_and_saveexec_b64 s[0:1], vcc
	s_cbranch_execz .LBB44_4
; %bb.2:
	s_mov_b32 s15, 0
	s_load_dwordx2 s[16:17], s[4:5], 0x18
	s_load_dwordx4 s[0:3], s[4:5], 0x20
	s_load_dwordx2 s[18:19], s[4:5], 0x38
	s_load_dwordx4 s[8:11], s[4:5], 0x40
	s_lshl_b64 s[14:15], s[14:15], 3
	s_waitcnt lgkmcnt(0)
	s_add_u32 s20, s16, s14
	s_addc_u32 s21, s17, s15
	s_add_u32 s22, s18, s14
	s_addc_u32 s23, s19, s15
	s_load_dwordx2 s[24:25], s[22:23], 0x0
	s_load_dwordx2 s[26:27], s[4:5], 0x58
	s_load_dwordx4 s[16:19], s[4:5], 0x60
	s_lshl_b64 s[4:5], s[8:9], 3
	s_waitcnt lgkmcnt(0)
	s_add_u32 s22, s24, s4
	s_addc_u32 s23, s25, s5
	s_add_u32 s4, s26, s14
	s_addc_u32 s5, s27, s15
	s_load_dwordx2 s[4:5], s[4:5], 0x0
	s_lshl_b64 s[8:9], s[16:17], 3
	s_mul_hi_u32 s14, s18, s6
	s_mul_i32 s15, s19, s6
	s_waitcnt lgkmcnt(0)
	s_add_u32 s16, s4, s8
	s_addc_u32 s17, s5, s9
	s_ashr_i32 s8, s6, 31
	s_mul_i32 s4, s18, s8
	s_mul_hi_u32 s9, s10, s6
	s_mul_i32 s8, s10, s8
	s_add_i32 s4, s14, s4
	s_add_i32 s8, s9, s8
	s_mul_i32 s9, s11, s6
	s_add_i32 s5, s4, s15
	s_mul_i32 s4, s18, s6
	;; [unrolled: 2-line block ×3, first 2 shown]
	s_lshl_b64 s[4:5], s[4:5], 3
	s_lshl_b64 s[8:9], s[8:9], 3
	s_add_u32 s8, s22, s8
	s_addc_u32 s9, s23, s9
	v_mov_b32_e32 v1, s8
	v_mov_b32_e32 v2, s9
	flat_load_dwordx2 v[3:4], v[1:2]
	v_mad_u64_u32 v[1:2], s[8:9], s2, v0, 0
	s_lshl_b64 s[0:1], s[0:1], 3
	v_mov_b32_e32 v8, s5
	s_waitcnt vmcnt(0) lgkmcnt(0)
	v_mad_u64_u32 v[5:6], s[8:9], s3, v0, v[2:3]
	s_load_dwordx2 s[8:9], s[20:21], 0x0
	v_cndmask_b32_e32 v2, 0, v0, vcc
	v_mul_f64 v[3:4], s[12:13], v[3:4]
	v_lshlrev_b32_e32 v7, 3, v2
	v_mov_b32_e32 v2, v5
	v_lshlrev_b64 v[5:6], 3, v[1:2]
	v_mov_b32_e32 v1, s17
	v_add_co_u32_e32 v2, vcc, s16, v7
	v_addc_co_u32_e32 v7, vcc, 0, v1, vcc
	v_add_co_u32_e32 v1, vcc, s4, v2
	s_waitcnt lgkmcnt(0)
	s_add_u32 s0, s8, s0
	v_addc_co_u32_e32 v2, vcc, v7, v8, vcc
	s_addc_u32 s1, s9, s1
	v_mov_b32_e32 v7, s1
	v_add_co_u32_e32 v5, vcc, s0, v5
	s_lshl_b64 s[0:1], s[2:3], 13
	v_addc_co_u32_e32 v6, vcc, v7, v6, vcc
	s_mov_b64 s[2:3], 0
	v_mov_b32_e32 v7, s1
.LBB44_3:                               ; =>This Inner Loop Header: Depth=1
	flat_load_dwordx2 v[8:9], v[5:6]
	flat_load_dwordx2 v[10:11], v[1:2]
	v_add_co_u32_e32 v5, vcc, s0, v5
	v_addc_co_u32_e32 v6, vcc, v6, v7, vcc
	v_add_u32_e32 v0, 0x400, v0
	v_cmp_le_i32_e32 vcc, s7, v0
	s_or_b64 s[2:3], vcc, s[2:3]
	s_waitcnt vmcnt(0) lgkmcnt(0)
	v_fma_f64 v[8:9], v[3:4], v[8:9], v[10:11]
	flat_store_dwordx2 v[1:2], v[8:9]
	v_add_co_u32_e32 v1, vcc, 0x2000, v1
	v_addc_co_u32_e32 v2, vcc, 0, v2, vcc
	s_andn2_b64 exec, exec, s[2:3]
	s_cbranch_execnz .LBB44_3
.LBB44_4:
	s_endpgm
	.section	.rodata,"a",@progbits
	.p2align	6, 0x0
	.amdhsa_kernel _ZL19rocblas_sger_kernelILi1024EdPKdPKS1_PKPdEviiT1_lT2_lllS8_lllT3_lmli
		.amdhsa_group_segment_fixed_size 0
		.amdhsa_private_segment_fixed_size 0
		.amdhsa_kernarg_size 124
		.amdhsa_user_sgpr_count 6
		.amdhsa_user_sgpr_private_segment_buffer 1
		.amdhsa_user_sgpr_dispatch_ptr 0
		.amdhsa_user_sgpr_queue_ptr 0
		.amdhsa_user_sgpr_kernarg_segment_ptr 1
		.amdhsa_user_sgpr_dispatch_id 0
		.amdhsa_user_sgpr_flat_scratch_init 0
		.amdhsa_user_sgpr_private_segment_size 0
		.amdhsa_uses_dynamic_stack 0
		.amdhsa_system_sgpr_private_segment_wavefront_offset 0
		.amdhsa_system_sgpr_workgroup_id_x 1
		.amdhsa_system_sgpr_workgroup_id_y 0
		.amdhsa_system_sgpr_workgroup_id_z 1
		.amdhsa_system_sgpr_workgroup_info 0
		.amdhsa_system_vgpr_workitem_id 0
		.amdhsa_next_free_vgpr 12
		.amdhsa_next_free_sgpr 28
		.amdhsa_reserve_vcc 1
		.amdhsa_reserve_flat_scratch 0
		.amdhsa_float_round_mode_32 0
		.amdhsa_float_round_mode_16_64 0
		.amdhsa_float_denorm_mode_32 3
		.amdhsa_float_denorm_mode_16_64 3
		.amdhsa_dx10_clamp 1
		.amdhsa_ieee_mode 1
		.amdhsa_fp16_overflow 0
		.amdhsa_exception_fp_ieee_invalid_op 0
		.amdhsa_exception_fp_denorm_src 0
		.amdhsa_exception_fp_ieee_div_zero 0
		.amdhsa_exception_fp_ieee_overflow 0
		.amdhsa_exception_fp_ieee_underflow 0
		.amdhsa_exception_fp_ieee_inexact 0
		.amdhsa_exception_int_div_zero 0
	.end_amdhsa_kernel
	.section	.text._ZL19rocblas_sger_kernelILi1024EdPKdPKS1_PKPdEviiT1_lT2_lllS8_lllT3_lmli,"axG",@progbits,_ZL19rocblas_sger_kernelILi1024EdPKdPKS1_PKPdEviiT1_lT2_lllS8_lllT3_lmli,comdat
.Lfunc_end44:
	.size	_ZL19rocblas_sger_kernelILi1024EdPKdPKS1_PKPdEviiT1_lT2_lllS8_lllT3_lmli, .Lfunc_end44-_ZL19rocblas_sger_kernelILi1024EdPKdPKS1_PKPdEviiT1_lT2_lllS8_lllT3_lmli
                                        ; -- End function
	.set _ZL19rocblas_sger_kernelILi1024EdPKdPKS1_PKPdEviiT1_lT2_lllS8_lllT3_lmli.num_vgpr, 12
	.set _ZL19rocblas_sger_kernelILi1024EdPKdPKS1_PKPdEviiT1_lT2_lllS8_lllT3_lmli.num_agpr, 0
	.set _ZL19rocblas_sger_kernelILi1024EdPKdPKS1_PKPdEviiT1_lT2_lllS8_lllT3_lmli.numbered_sgpr, 28
	.set _ZL19rocblas_sger_kernelILi1024EdPKdPKS1_PKPdEviiT1_lT2_lllS8_lllT3_lmli.num_named_barrier, 0
	.set _ZL19rocblas_sger_kernelILi1024EdPKdPKS1_PKPdEviiT1_lT2_lllS8_lllT3_lmli.private_seg_size, 0
	.set _ZL19rocblas_sger_kernelILi1024EdPKdPKS1_PKPdEviiT1_lT2_lllS8_lllT3_lmli.uses_vcc, 1
	.set _ZL19rocblas_sger_kernelILi1024EdPKdPKS1_PKPdEviiT1_lT2_lllS8_lllT3_lmli.uses_flat_scratch, 0
	.set _ZL19rocblas_sger_kernelILi1024EdPKdPKS1_PKPdEviiT1_lT2_lllS8_lllT3_lmli.has_dyn_sized_stack, 0
	.set _ZL19rocblas_sger_kernelILi1024EdPKdPKS1_PKPdEviiT1_lT2_lllS8_lllT3_lmli.has_recursion, 0
	.set _ZL19rocblas_sger_kernelILi1024EdPKdPKS1_PKPdEviiT1_lT2_lllS8_lllT3_lmli.has_indirect_call, 0
	.section	.AMDGPU.csdata,"",@progbits
; Kernel info:
; codeLenInByte = 516
; TotalNumSgprs: 32
; NumVgprs: 12
; ScratchSize: 0
; MemoryBound: 0
; FloatMode: 240
; IeeeMode: 1
; LDSByteSize: 0 bytes/workgroup (compile time only)
; SGPRBlocks: 3
; VGPRBlocks: 2
; NumSGPRsForWavesPerEU: 32
; NumVGPRsForWavesPerEU: 12
; Occupancy: 10
; WaveLimiterHint : 1
; COMPUTE_PGM_RSRC2:SCRATCH_EN: 0
; COMPUTE_PGM_RSRC2:USER_SGPR: 6
; COMPUTE_PGM_RSRC2:TRAP_HANDLER: 0
; COMPUTE_PGM_RSRC2:TGID_X_EN: 1
; COMPUTE_PGM_RSRC2:TGID_Y_EN: 0
; COMPUTE_PGM_RSRC2:TGID_Z_EN: 1
; COMPUTE_PGM_RSRC2:TIDIG_COMP_CNT: 0
	.section	.text._ZL19rocblas_sger_kernelILi1024EddPKPKdPKPdEviiT1_lT2_lllS8_lllT3_lmli,"axG",@progbits,_ZL19rocblas_sger_kernelILi1024EddPKPKdPKPdEviiT1_lT2_lllS8_lllT3_lmli,comdat
	.globl	_ZL19rocblas_sger_kernelILi1024EddPKPKdPKPdEviiT1_lT2_lllS8_lllT3_lmli ; -- Begin function _ZL19rocblas_sger_kernelILi1024EddPKPKdPKPdEviiT1_lT2_lllS8_lllT3_lmli
	.p2align	8
	.type	_ZL19rocblas_sger_kernelILi1024EddPKPKdPKPdEviiT1_lT2_lllS8_lllT3_lmli,@function
_ZL19rocblas_sger_kernelILi1024EddPKPKdPKPdEviiT1_lT2_lllS8_lllT3_lmli: ; @_ZL19rocblas_sger_kernelILi1024EddPKPKdPKPdEviiT1_lT2_lllS8_lllT3_lmli
; %bb.0:
	s_load_dwordx2 s[12:13], s[4:5], 0x8
	s_waitcnt lgkmcnt(0)
	v_cmp_eq_f64_e64 s[0:1], s[12:13], 0
	s_and_b64 vcc, exec, s[0:1]
	s_cbranch_vccnz .LBB45_4
; %bb.1:
	s_mov_b32 s14, s7
	s_load_dword s7, s[4:5], 0x0
	s_waitcnt lgkmcnt(0)
	v_cmp_gt_i32_e32 vcc, s7, v0
	s_and_saveexec_b64 s[0:1], vcc
	s_cbranch_execz .LBB45_4
; %bb.2:
	s_load_dwordx2 s[16:17], s[4:5], 0x18
	s_load_dwordx4 s[0:3], s[4:5], 0x20
	s_load_dwordx2 s[18:19], s[4:5], 0x38
	s_load_dwordx4 s[8:11], s[4:5], 0x40
	s_mov_b32 s15, 0
	s_lshl_b64 s[14:15], s[14:15], 3
	s_waitcnt lgkmcnt(0)
	s_add_u32 s20, s16, s14
	s_addc_u32 s21, s17, s15
	s_add_u32 s22, s18, s14
	s_addc_u32 s23, s19, s15
	s_load_dwordx2 s[24:25], s[22:23], 0x0
	s_load_dwordx2 s[26:27], s[4:5], 0x58
	s_load_dwordx4 s[16:19], s[4:5], 0x60
	s_lshl_b64 s[4:5], s[8:9], 3
	s_waitcnt lgkmcnt(0)
	s_add_u32 s22, s24, s4
	s_addc_u32 s23, s25, s5
	s_add_u32 s4, s26, s14
	s_addc_u32 s5, s27, s15
	s_load_dwordx2 s[4:5], s[4:5], 0x0
	s_lshl_b64 s[8:9], s[16:17], 3
	s_mul_hi_u32 s14, s18, s6
	s_mul_i32 s15, s19, s6
	s_waitcnt lgkmcnt(0)
	s_add_u32 s16, s4, s8
	s_addc_u32 s17, s5, s9
	s_ashr_i32 s8, s6, 31
	s_mul_i32 s4, s18, s8
	s_mul_hi_u32 s9, s10, s6
	s_mul_i32 s8, s10, s8
	s_add_i32 s4, s14, s4
	s_add_i32 s8, s9, s8
	s_mul_i32 s9, s11, s6
	s_add_i32 s5, s4, s15
	s_mul_i32 s4, s18, s6
	;; [unrolled: 2-line block ×3, first 2 shown]
	s_lshl_b64 s[4:5], s[4:5], 3
	s_lshl_b64 s[8:9], s[8:9], 3
	s_add_u32 s8, s22, s8
	s_addc_u32 s9, s23, s9
	v_mov_b32_e32 v1, s8
	v_mov_b32_e32 v2, s9
	flat_load_dwordx2 v[3:4], v[1:2]
	v_mad_u64_u32 v[1:2], s[8:9], s2, v0, 0
	s_lshl_b64 s[0:1], s[0:1], 3
	v_mov_b32_e32 v8, s5
	s_waitcnt vmcnt(0) lgkmcnt(0)
	v_mad_u64_u32 v[5:6], s[8:9], s3, v0, v[2:3]
	s_load_dwordx2 s[8:9], s[20:21], 0x0
	v_cndmask_b32_e32 v2, 0, v0, vcc
	v_mul_f64 v[3:4], s[12:13], v[3:4]
	v_lshlrev_b32_e32 v7, 3, v2
	v_mov_b32_e32 v2, v5
	v_lshlrev_b64 v[5:6], 3, v[1:2]
	v_mov_b32_e32 v1, s17
	v_add_co_u32_e32 v2, vcc, s16, v7
	v_addc_co_u32_e32 v7, vcc, 0, v1, vcc
	v_add_co_u32_e32 v1, vcc, s4, v2
	s_waitcnt lgkmcnt(0)
	s_add_u32 s0, s8, s0
	v_addc_co_u32_e32 v2, vcc, v7, v8, vcc
	s_addc_u32 s1, s9, s1
	v_mov_b32_e32 v7, s1
	v_add_co_u32_e32 v5, vcc, s0, v5
	s_lshl_b64 s[0:1], s[2:3], 13
	v_addc_co_u32_e32 v6, vcc, v7, v6, vcc
	s_mov_b64 s[2:3], 0
	v_mov_b32_e32 v7, s1
.LBB45_3:                               ; =>This Inner Loop Header: Depth=1
	flat_load_dwordx2 v[8:9], v[5:6]
	flat_load_dwordx2 v[10:11], v[1:2]
	v_add_co_u32_e32 v5, vcc, s0, v5
	v_addc_co_u32_e32 v6, vcc, v6, v7, vcc
	v_add_u32_e32 v0, 0x400, v0
	v_cmp_le_i32_e32 vcc, s7, v0
	s_or_b64 s[2:3], vcc, s[2:3]
	s_waitcnt vmcnt(0) lgkmcnt(0)
	v_fma_f64 v[8:9], v[3:4], v[8:9], v[10:11]
	flat_store_dwordx2 v[1:2], v[8:9]
	v_add_co_u32_e32 v1, vcc, 0x2000, v1
	v_addc_co_u32_e32 v2, vcc, 0, v2, vcc
	s_andn2_b64 exec, exec, s[2:3]
	s_cbranch_execnz .LBB45_3
.LBB45_4:
	s_endpgm
	.section	.rodata,"a",@progbits
	.p2align	6, 0x0
	.amdhsa_kernel _ZL19rocblas_sger_kernelILi1024EddPKPKdPKPdEviiT1_lT2_lllS8_lllT3_lmli
		.amdhsa_group_segment_fixed_size 0
		.amdhsa_private_segment_fixed_size 0
		.amdhsa_kernarg_size 124
		.amdhsa_user_sgpr_count 6
		.amdhsa_user_sgpr_private_segment_buffer 1
		.amdhsa_user_sgpr_dispatch_ptr 0
		.amdhsa_user_sgpr_queue_ptr 0
		.amdhsa_user_sgpr_kernarg_segment_ptr 1
		.amdhsa_user_sgpr_dispatch_id 0
		.amdhsa_user_sgpr_flat_scratch_init 0
		.amdhsa_user_sgpr_private_segment_size 0
		.amdhsa_uses_dynamic_stack 0
		.amdhsa_system_sgpr_private_segment_wavefront_offset 0
		.amdhsa_system_sgpr_workgroup_id_x 1
		.amdhsa_system_sgpr_workgroup_id_y 0
		.amdhsa_system_sgpr_workgroup_id_z 1
		.amdhsa_system_sgpr_workgroup_info 0
		.amdhsa_system_vgpr_workitem_id 0
		.amdhsa_next_free_vgpr 12
		.amdhsa_next_free_sgpr 28
		.amdhsa_reserve_vcc 1
		.amdhsa_reserve_flat_scratch 0
		.amdhsa_float_round_mode_32 0
		.amdhsa_float_round_mode_16_64 0
		.amdhsa_float_denorm_mode_32 3
		.amdhsa_float_denorm_mode_16_64 3
		.amdhsa_dx10_clamp 1
		.amdhsa_ieee_mode 1
		.amdhsa_fp16_overflow 0
		.amdhsa_exception_fp_ieee_invalid_op 0
		.amdhsa_exception_fp_denorm_src 0
		.amdhsa_exception_fp_ieee_div_zero 0
		.amdhsa_exception_fp_ieee_overflow 0
		.amdhsa_exception_fp_ieee_underflow 0
		.amdhsa_exception_fp_ieee_inexact 0
		.amdhsa_exception_int_div_zero 0
	.end_amdhsa_kernel
	.section	.text._ZL19rocblas_sger_kernelILi1024EddPKPKdPKPdEviiT1_lT2_lllS8_lllT3_lmli,"axG",@progbits,_ZL19rocblas_sger_kernelILi1024EddPKPKdPKPdEviiT1_lT2_lllS8_lllT3_lmli,comdat
.Lfunc_end45:
	.size	_ZL19rocblas_sger_kernelILi1024EddPKPKdPKPdEviiT1_lT2_lllS8_lllT3_lmli, .Lfunc_end45-_ZL19rocblas_sger_kernelILi1024EddPKPKdPKPdEviiT1_lT2_lllS8_lllT3_lmli
                                        ; -- End function
	.set _ZL19rocblas_sger_kernelILi1024EddPKPKdPKPdEviiT1_lT2_lllS8_lllT3_lmli.num_vgpr, 12
	.set _ZL19rocblas_sger_kernelILi1024EddPKPKdPKPdEviiT1_lT2_lllS8_lllT3_lmli.num_agpr, 0
	.set _ZL19rocblas_sger_kernelILi1024EddPKPKdPKPdEviiT1_lT2_lllS8_lllT3_lmli.numbered_sgpr, 28
	.set _ZL19rocblas_sger_kernelILi1024EddPKPKdPKPdEviiT1_lT2_lllS8_lllT3_lmli.num_named_barrier, 0
	.set _ZL19rocblas_sger_kernelILi1024EddPKPKdPKPdEviiT1_lT2_lllS8_lllT3_lmli.private_seg_size, 0
	.set _ZL19rocblas_sger_kernelILi1024EddPKPKdPKPdEviiT1_lT2_lllS8_lllT3_lmli.uses_vcc, 1
	.set _ZL19rocblas_sger_kernelILi1024EddPKPKdPKPdEviiT1_lT2_lllS8_lllT3_lmli.uses_flat_scratch, 0
	.set _ZL19rocblas_sger_kernelILi1024EddPKPKdPKPdEviiT1_lT2_lllS8_lllT3_lmli.has_dyn_sized_stack, 0
	.set _ZL19rocblas_sger_kernelILi1024EddPKPKdPKPdEviiT1_lT2_lllS8_lllT3_lmli.has_recursion, 0
	.set _ZL19rocblas_sger_kernelILi1024EddPKPKdPKPdEviiT1_lT2_lllS8_lllT3_lmli.has_indirect_call, 0
	.section	.AMDGPU.csdata,"",@progbits
; Kernel info:
; codeLenInByte = 476
; TotalNumSgprs: 32
; NumVgprs: 12
; ScratchSize: 0
; MemoryBound: 0
; FloatMode: 240
; IeeeMode: 1
; LDSByteSize: 0 bytes/workgroup (compile time only)
; SGPRBlocks: 3
; VGPRBlocks: 2
; NumSGPRsForWavesPerEU: 32
; NumVGPRsForWavesPerEU: 12
; Occupancy: 10
; WaveLimiterHint : 1
; COMPUTE_PGM_RSRC2:SCRATCH_EN: 0
; COMPUTE_PGM_RSRC2:USER_SGPR: 6
; COMPUTE_PGM_RSRC2:TRAP_HANDLER: 0
; COMPUTE_PGM_RSRC2:TGID_X_EN: 1
; COMPUTE_PGM_RSRC2:TGID_Y_EN: 0
; COMPUTE_PGM_RSRC2:TGID_Z_EN: 1
; COMPUTE_PGM_RSRC2:TIDIG_COMP_CNT: 0
	.section	.text._ZL18rocblas_ger_kernelILi32ELi32ELi2ELb0EdPKdPKS1_PKPdEviiT4_lT5_lllS8_lllT6_lmli,"axG",@progbits,_ZL18rocblas_ger_kernelILi32ELi32ELi2ELb0EdPKdPKS1_PKPdEviiT4_lT5_lllS8_lllT6_lmli,comdat
	.globl	_ZL18rocblas_ger_kernelILi32ELi32ELi2ELb0EdPKdPKS1_PKPdEviiT4_lT5_lllS8_lllT6_lmli ; -- Begin function _ZL18rocblas_ger_kernelILi32ELi32ELi2ELb0EdPKdPKS1_PKPdEviiT4_lT5_lllS8_lllT6_lmli
	.p2align	8
	.type	_ZL18rocblas_ger_kernelILi32ELi32ELi2ELb0EdPKdPKS1_PKPdEviiT4_lT5_lllS8_lllT6_lmli,@function
_ZL18rocblas_ger_kernelILi32ELi32ELi2ELb0EdPKdPKS1_PKPdEviiT4_lT5_lllS8_lllT6_lmli: ; @_ZL18rocblas_ger_kernelILi32ELi32ELi2ELb0EdPKdPKS1_PKPdEviiT4_lT5_lllS8_lllT6_lmli
; %bb.0:
	s_load_dwordx2 s[8:9], s[4:5], 0x0
	s_load_dwordx4 s[12:15], s[4:5], 0x8
	s_mov_b32 s0, s7
	s_waitcnt lgkmcnt(0)
	s_add_i32 s1, s8, -1
	s_ashr_i32 s2, s1, 31
	s_lshr_b32 s2, s2, 27
	s_add_i32 s1, s1, s2
	s_mul_i32 s3, s15, s7
	s_mul_hi_u32 s7, s14, s7
	s_ashr_i32 s1, s1, 5
	s_add_i32 s11, s7, s3
	s_mul_i32 s10, s14, s0
	s_add_i32 s2, s1, 1
	s_lshl_b64 s[10:11], s[10:11], 3
	s_add_u32 s10, s12, s10
	s_addc_u32 s11, s13, s11
	v_cvt_f32_u32_e32 v2, s2
	s_load_dwordx2 s[10:11], s[10:11], 0x0
	v_rcp_iflag_f32_e32 v2, v2
	s_waitcnt lgkmcnt(0)
	v_cmp_eq_f64_e64 s[12:13], s[10:11], 0
	v_mul_f32_e32 v2, 0x4f7ffffe, v2
	v_cvt_u32_f32_e32 v2, v2
	v_readfirstlane_b32 s3, v2
	s_and_b64 vcc, exec, s[12:13]
	s_cbranch_vccnz .LBB46_14
; %bb.1:
	s_not_b32 s1, s1
	s_mul_i32 s1, s1, s3
	s_mul_hi_u32 s1, s3, s1
	s_add_i32 s3, s3, s1
	s_mul_hi_u32 s3, s6, s3
	s_mul_i32 s7, s3, s2
	s_sub_i32 s7, s6, s7
	s_add_i32 s12, s3, 1
	s_sub_i32 s13, s7, s2
	s_cmp_ge_u32 s7, s2
	s_cselect_b32 s3, s12, s3
	s_load_dwordx2 s[14:15], s[4:5], 0x58
	s_load_dwordx2 s[18:19], s[4:5], 0x38
	s_cselect_b32 s7, s13, s7
	s_add_i32 s12, s3, 1
	s_cmp_ge_u32 s7, s2
	s_cselect_b32 s16, s12, s3
	s_mov_b32 s1, 0
	s_mul_i32 s2, s16, s2
	s_sub_i32 s17, s6, s2
	s_lshl_b64 s[12:13], s[0:1], 3
	s_waitcnt lgkmcnt(0)
	s_add_u32 s0, s18, s12
	s_addc_u32 s1, s19, s13
	s_add_u32 s2, s14, s12
	s_addc_u32 s3, s15, s13
	s_load_dwordx2 s[0:1], s[0:1], 0x0
	v_lshl_add_u32 v2, s17, 5, v0
	s_load_dwordx2 s[6:7], s[2:3], 0x0
	v_cmp_eq_u32_e32 vcc, 0, v1
	s_and_saveexec_b64 s[2:3], vcc
	s_cbranch_execz .LBB46_5
; %bb.2:
	v_mov_b32_e32 v3, 0
	v_mov_b32_e32 v4, 0
	v_cmp_gt_i32_e32 vcc, s8, v2
	s_and_saveexec_b64 s[14:15], vcc
	s_cbranch_execz .LBB46_4
; %bb.3:
	s_load_dwordx2 s[18:19], s[4:5], 0x18
	s_load_dwordx4 s[20:23], s[4:5], 0x20
	v_ashrrev_i32_e32 v3, 31, v2
	s_waitcnt lgkmcnt(0)
	s_add_u32 s12, s18, s12
	s_addc_u32 s13, s19, s13
	v_mul_lo_u32 v5, s23, v2
	v_mul_lo_u32 v6, s22, v3
	v_mad_u64_u32 v[3:4], s[18:19], s22, v2, 0
	s_load_dwordx2 s[12:13], s[12:13], 0x0
	s_lshl_b64 s[18:19], s[20:21], 3
	v_add3_u32 v4, v4, v6, v5
	v_lshlrev_b64 v[3:4], 3, v[3:4]
	s_waitcnt lgkmcnt(0)
	s_add_u32 s12, s12, s18
	s_addc_u32 s13, s13, s19
	v_mov_b32_e32 v5, s13
	v_add_co_u32_e32 v3, vcc, s12, v3
	v_addc_co_u32_e32 v4, vcc, v5, v4, vcc
	flat_load_dwordx2 v[3:4], v[3:4]
.LBB46_4:
	s_or_b64 exec, exec, s[14:15]
	v_lshlrev_b32_e32 v5, 3, v0
	s_waitcnt vmcnt(0) lgkmcnt(0)
	ds_write_b64 v5, v[3:4] offset:512
.LBB46_5:
	s_or_b64 exec, exec, s[2:3]
	v_lshlrev_b32_e32 v1, 1, v1
	v_lshl_add_u32 v5, s16, 6, v1
	v_cmp_gt_u32_e32 vcc, 2, v0
	s_and_saveexec_b64 s[2:3], vcc
	s_cbranch_execz .LBB46_9
; %bb.6:
	v_or_b32_e32 v6, v5, v0
	v_mov_b32_e32 v3, 0
	v_mov_b32_e32 v4, 0
	v_cmp_gt_u32_e32 vcc, s9, v6
	s_and_saveexec_b64 s[12:13], vcc
	s_cbranch_execz .LBB46_8
; %bb.7:
	s_load_dwordx4 s[16:19], s[4:5], 0x40
	s_waitcnt lgkmcnt(0)
	v_mad_u64_u32 v[3:4], s[14:15], s18, v6, 0
	s_lshl_b64 s[14:15], s[16:17], 3
	s_add_u32 s0, s0, s14
	v_mad_u64_u32 v[6:7], s[16:17], s19, v6, v[4:5]
	s_addc_u32 s1, s1, s15
	v_mov_b32_e32 v7, s1
	v_mov_b32_e32 v4, v6
	v_lshlrev_b64 v[3:4], 3, v[3:4]
	v_add_co_u32_e32 v3, vcc, s0, v3
	v_addc_co_u32_e32 v4, vcc, v7, v4, vcc
	flat_load_dwordx2 v[3:4], v[3:4]
.LBB46_8:
	s_or_b64 exec, exec, s[12:13]
	v_lshlrev_b32_e32 v6, 3, v0
	v_lshl_add_u32 v6, v1, 3, v6
	s_waitcnt vmcnt(0) lgkmcnt(0)
	ds_write_b64 v6, v[3:4]
.LBB46_9:
	s_or_b64 exec, exec, s[2:3]
	v_cmp_gt_i32_e32 vcc, s8, v2
	s_waitcnt lgkmcnt(0)
	s_barrier
	s_and_saveexec_b64 s[0:1], vcc
	s_cbranch_execz .LBB46_14
; %bb.10:
	v_lshlrev_b32_e32 v0, 3, v0
	ds_read_b64 v[6:7], v0 offset:512
	s_load_dwordx4 s[0:3], s[4:5], 0x60
	v_lshlrev_b32_e32 v4, 3, v1
	v_ashrrev_i32_e32 v3, 31, v2
	v_lshlrev_b64 v[2:3], 3, v[2:3]
	s_waitcnt lgkmcnt(0)
	v_mul_f64 v[0:1], s[10:11], v[6:7]
	s_lshl_b64 s[0:1], s[0:1], 3
	s_add_u32 s0, s6, s0
	s_addc_u32 s1, s7, s1
	v_mov_b32_e32 v6, s1
	v_add_co_u32_e32 v2, vcc, s0, v2
	v_addc_co_u32_e32 v3, vcc, v6, v3, vcc
	v_cmp_gt_i32_e32 vcc, s9, v5
	s_and_saveexec_b64 s[0:1], vcc
	s_cbranch_execz .LBB46_12
; %bb.11:
	v_ashrrev_i32_e32 v8, 31, v5
	v_mul_lo_u32 v9, s3, v5
	v_mad_u64_u32 v[6:7], s[4:5], s2, v5, 0
	v_mul_lo_u32 v8, s2, v8
	ds_read_b64 v[10:11], v4
	v_add3_u32 v7, v7, v8, v9
	v_lshlrev_b64 v[6:7], 3, v[6:7]
	v_add_co_u32_e32 v6, vcc, v2, v6
	v_addc_co_u32_e32 v7, vcc, v3, v7, vcc
	flat_load_dwordx2 v[8:9], v[6:7]
	s_waitcnt vmcnt(0) lgkmcnt(0)
	v_fma_f64 v[8:9], v[0:1], v[10:11], v[8:9]
	flat_store_dwordx2 v[6:7], v[8:9]
.LBB46_12:
	s_or_b64 exec, exec, s[0:1]
	v_or_b32_e32 v5, 1, v5
	v_cmp_gt_i32_e32 vcc, s9, v5
	s_and_b64 exec, exec, vcc
	s_cbranch_execz .LBB46_14
; %bb.13:
	v_ashrrev_i32_e32 v7, 31, v5
	v_mul_lo_u32 v8, s3, v5
	v_mad_u64_u32 v[5:6], s[0:1], s2, v5, 0
	v_mul_lo_u32 v7, s2, v7
	v_add3_u32 v6, v6, v7, v8
	v_lshlrev_b64 v[5:6], 3, v[5:6]
	ds_read_b64 v[7:8], v4 offset:8
	v_add_co_u32_e32 v2, vcc, v2, v5
	v_addc_co_u32_e32 v3, vcc, v3, v6, vcc
	flat_load_dwordx2 v[5:6], v[2:3]
	s_waitcnt vmcnt(0) lgkmcnt(0)
	v_fma_f64 v[0:1], v[0:1], v[7:8], v[5:6]
	flat_store_dwordx2 v[2:3], v[0:1]
.LBB46_14:
	s_endpgm
	.section	.rodata,"a",@progbits
	.p2align	6, 0x0
	.amdhsa_kernel _ZL18rocblas_ger_kernelILi32ELi32ELi2ELb0EdPKdPKS1_PKPdEviiT4_lT5_lllS8_lllT6_lmli
		.amdhsa_group_segment_fixed_size 768
		.amdhsa_private_segment_fixed_size 0
		.amdhsa_kernarg_size 124
		.amdhsa_user_sgpr_count 6
		.amdhsa_user_sgpr_private_segment_buffer 1
		.amdhsa_user_sgpr_dispatch_ptr 0
		.amdhsa_user_sgpr_queue_ptr 0
		.amdhsa_user_sgpr_kernarg_segment_ptr 1
		.amdhsa_user_sgpr_dispatch_id 0
		.amdhsa_user_sgpr_flat_scratch_init 0
		.amdhsa_user_sgpr_private_segment_size 0
		.amdhsa_uses_dynamic_stack 0
		.amdhsa_system_sgpr_private_segment_wavefront_offset 0
		.amdhsa_system_sgpr_workgroup_id_x 1
		.amdhsa_system_sgpr_workgroup_id_y 0
		.amdhsa_system_sgpr_workgroup_id_z 1
		.amdhsa_system_sgpr_workgroup_info 0
		.amdhsa_system_vgpr_workitem_id 1
		.amdhsa_next_free_vgpr 12
		.amdhsa_next_free_sgpr 24
		.amdhsa_reserve_vcc 1
		.amdhsa_reserve_flat_scratch 0
		.amdhsa_float_round_mode_32 0
		.amdhsa_float_round_mode_16_64 0
		.amdhsa_float_denorm_mode_32 3
		.amdhsa_float_denorm_mode_16_64 3
		.amdhsa_dx10_clamp 1
		.amdhsa_ieee_mode 1
		.amdhsa_fp16_overflow 0
		.amdhsa_exception_fp_ieee_invalid_op 0
		.amdhsa_exception_fp_denorm_src 0
		.amdhsa_exception_fp_ieee_div_zero 0
		.amdhsa_exception_fp_ieee_overflow 0
		.amdhsa_exception_fp_ieee_underflow 0
		.amdhsa_exception_fp_ieee_inexact 0
		.amdhsa_exception_int_div_zero 0
	.end_amdhsa_kernel
	.section	.text._ZL18rocblas_ger_kernelILi32ELi32ELi2ELb0EdPKdPKS1_PKPdEviiT4_lT5_lllS8_lllT6_lmli,"axG",@progbits,_ZL18rocblas_ger_kernelILi32ELi32ELi2ELb0EdPKdPKS1_PKPdEviiT4_lT5_lllS8_lllT6_lmli,comdat
.Lfunc_end46:
	.size	_ZL18rocblas_ger_kernelILi32ELi32ELi2ELb0EdPKdPKS1_PKPdEviiT4_lT5_lllS8_lllT6_lmli, .Lfunc_end46-_ZL18rocblas_ger_kernelILi32ELi32ELi2ELb0EdPKdPKS1_PKPdEviiT4_lT5_lllS8_lllT6_lmli
                                        ; -- End function
	.set _ZL18rocblas_ger_kernelILi32ELi32ELi2ELb0EdPKdPKS1_PKPdEviiT4_lT5_lllS8_lllT6_lmli.num_vgpr, 12
	.set _ZL18rocblas_ger_kernelILi32ELi32ELi2ELb0EdPKdPKS1_PKPdEviiT4_lT5_lllS8_lllT6_lmli.num_agpr, 0
	.set _ZL18rocblas_ger_kernelILi32ELi32ELi2ELb0EdPKdPKS1_PKPdEviiT4_lT5_lllS8_lllT6_lmli.numbered_sgpr, 24
	.set _ZL18rocblas_ger_kernelILi32ELi32ELi2ELb0EdPKdPKS1_PKPdEviiT4_lT5_lllS8_lllT6_lmli.num_named_barrier, 0
	.set _ZL18rocblas_ger_kernelILi32ELi32ELi2ELb0EdPKdPKS1_PKPdEviiT4_lT5_lllS8_lllT6_lmli.private_seg_size, 0
	.set _ZL18rocblas_ger_kernelILi32ELi32ELi2ELb0EdPKdPKS1_PKPdEviiT4_lT5_lllS8_lllT6_lmli.uses_vcc, 1
	.set _ZL18rocblas_ger_kernelILi32ELi32ELi2ELb0EdPKdPKS1_PKPdEviiT4_lT5_lllS8_lllT6_lmli.uses_flat_scratch, 0
	.set _ZL18rocblas_ger_kernelILi32ELi32ELi2ELb0EdPKdPKS1_PKPdEviiT4_lT5_lllS8_lllT6_lmli.has_dyn_sized_stack, 0
	.set _ZL18rocblas_ger_kernelILi32ELi32ELi2ELb0EdPKdPKS1_PKPdEviiT4_lT5_lllS8_lllT6_lmli.has_recursion, 0
	.set _ZL18rocblas_ger_kernelILi32ELi32ELi2ELb0EdPKdPKS1_PKPdEviiT4_lT5_lllS8_lllT6_lmli.has_indirect_call, 0
	.section	.AMDGPU.csdata,"",@progbits
; Kernel info:
; codeLenInByte = 892
; TotalNumSgprs: 28
; NumVgprs: 12
; ScratchSize: 0
; MemoryBound: 0
; FloatMode: 240
; IeeeMode: 1
; LDSByteSize: 768 bytes/workgroup (compile time only)
; SGPRBlocks: 3
; VGPRBlocks: 2
; NumSGPRsForWavesPerEU: 28
; NumVGPRsForWavesPerEU: 12
; Occupancy: 10
; WaveLimiterHint : 1
; COMPUTE_PGM_RSRC2:SCRATCH_EN: 0
; COMPUTE_PGM_RSRC2:USER_SGPR: 6
; COMPUTE_PGM_RSRC2:TRAP_HANDLER: 0
; COMPUTE_PGM_RSRC2:TGID_X_EN: 1
; COMPUTE_PGM_RSRC2:TGID_Y_EN: 0
; COMPUTE_PGM_RSRC2:TGID_Z_EN: 1
; COMPUTE_PGM_RSRC2:TIDIG_COMP_CNT: 1
	.section	.text._ZL18rocblas_ger_kernelILi32ELi32ELi2ELb0EddPKPKdPKPdEviiT4_lT5_lllS8_lllT6_lmli,"axG",@progbits,_ZL18rocblas_ger_kernelILi32ELi32ELi2ELb0EddPKPKdPKPdEviiT4_lT5_lllS8_lllT6_lmli,comdat
	.globl	_ZL18rocblas_ger_kernelILi32ELi32ELi2ELb0EddPKPKdPKPdEviiT4_lT5_lllS8_lllT6_lmli ; -- Begin function _ZL18rocblas_ger_kernelILi32ELi32ELi2ELb0EddPKPKdPKPdEviiT4_lT5_lllS8_lllT6_lmli
	.p2align	8
	.type	_ZL18rocblas_ger_kernelILi32ELi32ELi2ELb0EddPKPKdPKPdEviiT4_lT5_lllS8_lllT6_lmli,@function
_ZL18rocblas_ger_kernelILi32ELi32ELi2ELb0EddPKPKdPKPdEviiT4_lT5_lllS8_lllT6_lmli: ; @_ZL18rocblas_ger_kernelILi32ELi32ELi2ELb0EddPKPKdPKPdEviiT4_lT5_lllS8_lllT6_lmli
; %bb.0:
	s_load_dwordx4 s[0:3], s[4:5], 0x0
	s_mov_b32 s8, s7
	s_waitcnt lgkmcnt(0)
	s_add_i32 s7, s0, -1
	s_ashr_i32 s9, s7, 31
	s_lshr_b32 s9, s9, 27
	s_add_i32 s7, s7, s9
	s_ashr_i32 s9, s7, 5
	s_add_i32 s7, s9, 1
	v_cvt_f32_u32_e32 v2, s7
	v_cmp_eq_f64_e64 s[10:11], s[2:3], 0
	v_rcp_iflag_f32_e32 v2, v2
	v_mul_f32_e32 v2, 0x4f7ffffe, v2
	v_cvt_u32_f32_e32 v2, v2
	s_and_b64 vcc, exec, s[10:11]
	v_readfirstlane_b32 s10, v2
	s_cbranch_vccnz .LBB47_14
; %bb.1:
	s_not_b32 s9, s9
	s_mul_i32 s9, s9, s10
	s_mul_hi_u32 s9, s10, s9
	s_add_i32 s10, s10, s9
	s_mul_hi_u32 s9, s6, s10
	s_mul_i32 s10, s9, s7
	s_sub_i32 s10, s6, s10
	s_add_i32 s11, s9, 1
	s_sub_i32 s12, s10, s7
	s_cmp_ge_u32 s10, s7
	s_cselect_b32 s9, s11, s9
	s_load_dwordx2 s[14:15], s[4:5], 0x58
	s_load_dwordx2 s[18:19], s[4:5], 0x38
	s_cselect_b32 s10, s12, s10
	s_add_i32 s11, s9, 1
	s_cmp_ge_u32 s10, s7
	s_cselect_b32 s16, s11, s9
	s_mul_i32 s7, s16, s7
	s_mov_b32 s9, 0
	s_sub_i32 s10, s6, s7
	s_lshl_b64 s[12:13], s[8:9], 3
	s_waitcnt lgkmcnt(0)
	s_add_u32 s6, s18, s12
	s_addc_u32 s7, s19, s13
	s_add_u32 s8, s14, s12
	s_addc_u32 s9, s15, s13
	s_load_dwordx2 s[6:7], s[6:7], 0x0
	v_lshl_add_u32 v2, s10, 5, v0
	s_load_dwordx2 s[8:9], s[8:9], 0x0
	v_cmp_eq_u32_e32 vcc, 0, v1
	s_and_saveexec_b64 s[10:11], vcc
	s_cbranch_execz .LBB47_5
; %bb.2:
	v_mov_b32_e32 v3, 0
	v_mov_b32_e32 v4, 0
	v_cmp_gt_i32_e32 vcc, s0, v2
	s_and_saveexec_b64 s[14:15], vcc
	s_cbranch_execz .LBB47_4
; %bb.3:
	s_load_dwordx2 s[18:19], s[4:5], 0x18
	s_load_dwordx4 s[20:23], s[4:5], 0x20
	v_ashrrev_i32_e32 v3, 31, v2
	s_waitcnt lgkmcnt(0)
	s_add_u32 s12, s18, s12
	s_addc_u32 s13, s19, s13
	v_mul_lo_u32 v5, s23, v2
	v_mul_lo_u32 v6, s22, v3
	v_mad_u64_u32 v[3:4], s[18:19], s22, v2, 0
	s_load_dwordx2 s[12:13], s[12:13], 0x0
	s_lshl_b64 s[18:19], s[20:21], 3
	v_add3_u32 v4, v4, v6, v5
	v_lshlrev_b64 v[3:4], 3, v[3:4]
	s_waitcnt lgkmcnt(0)
	s_add_u32 s12, s12, s18
	s_addc_u32 s13, s13, s19
	v_mov_b32_e32 v5, s13
	v_add_co_u32_e32 v3, vcc, s12, v3
	v_addc_co_u32_e32 v4, vcc, v5, v4, vcc
	flat_load_dwordx2 v[3:4], v[3:4]
.LBB47_4:
	s_or_b64 exec, exec, s[14:15]
	v_lshlrev_b32_e32 v5, 3, v0
	s_waitcnt vmcnt(0) lgkmcnt(0)
	ds_write_b64 v5, v[3:4] offset:512
.LBB47_5:
	s_or_b64 exec, exec, s[10:11]
	v_lshlrev_b32_e32 v1, 1, v1
	v_lshl_add_u32 v5, s16, 6, v1
	v_cmp_gt_u32_e32 vcc, 2, v0
	s_and_saveexec_b64 s[10:11], vcc
	s_cbranch_execz .LBB47_9
; %bb.6:
	v_or_b32_e32 v6, v5, v0
	v_mov_b32_e32 v3, 0
	v_mov_b32_e32 v4, 0
	v_cmp_gt_u32_e32 vcc, s1, v6
	s_and_saveexec_b64 s[12:13], vcc
	s_cbranch_execz .LBB47_8
; %bb.7:
	s_load_dwordx4 s[16:19], s[4:5], 0x40
	s_waitcnt lgkmcnt(0)
	v_mad_u64_u32 v[3:4], s[14:15], s18, v6, 0
	s_lshl_b64 s[14:15], s[16:17], 3
	s_add_u32 s6, s6, s14
	v_mad_u64_u32 v[6:7], s[16:17], s19, v6, v[4:5]
	s_addc_u32 s7, s7, s15
	v_mov_b32_e32 v7, s7
	v_mov_b32_e32 v4, v6
	v_lshlrev_b64 v[3:4], 3, v[3:4]
	v_add_co_u32_e32 v3, vcc, s6, v3
	v_addc_co_u32_e32 v4, vcc, v7, v4, vcc
	flat_load_dwordx2 v[3:4], v[3:4]
.LBB47_8:
	s_or_b64 exec, exec, s[12:13]
	v_lshlrev_b32_e32 v6, 3, v0
	v_lshl_add_u32 v6, v1, 3, v6
	s_waitcnt vmcnt(0) lgkmcnt(0)
	ds_write_b64 v6, v[3:4]
.LBB47_9:
	s_or_b64 exec, exec, s[10:11]
	v_cmp_gt_i32_e32 vcc, s0, v2
	s_waitcnt lgkmcnt(0)
	s_barrier
	s_and_saveexec_b64 s[6:7], vcc
	s_cbranch_execz .LBB47_14
; %bb.10:
	v_lshlrev_b32_e32 v0, 3, v0
	ds_read_b64 v[6:7], v0 offset:512
	s_load_dwordx4 s[4:7], s[4:5], 0x60
	v_lshlrev_b32_e32 v4, 3, v1
	v_ashrrev_i32_e32 v3, 31, v2
	v_lshlrev_b64 v[2:3], 3, v[2:3]
	s_waitcnt lgkmcnt(0)
	v_mul_f64 v[0:1], s[2:3], v[6:7]
	s_lshl_b64 s[4:5], s[4:5], 3
	s_add_u32 s0, s8, s4
	s_addc_u32 s2, s9, s5
	v_mov_b32_e32 v6, s2
	v_add_co_u32_e32 v2, vcc, s0, v2
	v_addc_co_u32_e32 v3, vcc, v6, v3, vcc
	v_cmp_gt_i32_e32 vcc, s1, v5
	s_and_saveexec_b64 s[2:3], vcc
	s_cbranch_execz .LBB47_12
; %bb.11:
	v_ashrrev_i32_e32 v8, 31, v5
	v_mul_lo_u32 v9, s7, v5
	v_mad_u64_u32 v[6:7], s[4:5], s6, v5, 0
	v_mul_lo_u32 v8, s6, v8
	ds_read_b64 v[10:11], v4
	v_add3_u32 v7, v7, v8, v9
	v_lshlrev_b64 v[6:7], 3, v[6:7]
	v_add_co_u32_e32 v6, vcc, v2, v6
	v_addc_co_u32_e32 v7, vcc, v3, v7, vcc
	flat_load_dwordx2 v[8:9], v[6:7]
	s_waitcnt vmcnt(0) lgkmcnt(0)
	v_fma_f64 v[8:9], v[0:1], v[10:11], v[8:9]
	flat_store_dwordx2 v[6:7], v[8:9]
.LBB47_12:
	s_or_b64 exec, exec, s[2:3]
	v_or_b32_e32 v5, 1, v5
	v_cmp_gt_i32_e32 vcc, s1, v5
	s_and_b64 exec, exec, vcc
	s_cbranch_execz .LBB47_14
; %bb.13:
	v_ashrrev_i32_e32 v7, 31, v5
	v_mul_lo_u32 v8, s7, v5
	v_mad_u64_u32 v[5:6], s[0:1], s6, v5, 0
	v_mul_lo_u32 v7, s6, v7
	v_add3_u32 v6, v6, v7, v8
	v_lshlrev_b64 v[5:6], 3, v[5:6]
	ds_read_b64 v[7:8], v4 offset:8
	v_add_co_u32_e32 v2, vcc, v2, v5
	v_addc_co_u32_e32 v3, vcc, v3, v6, vcc
	flat_load_dwordx2 v[5:6], v[2:3]
	s_waitcnt vmcnt(0) lgkmcnt(0)
	v_fma_f64 v[0:1], v[0:1], v[7:8], v[5:6]
	flat_store_dwordx2 v[2:3], v[0:1]
.LBB47_14:
	s_endpgm
	.section	.rodata,"a",@progbits
	.p2align	6, 0x0
	.amdhsa_kernel _ZL18rocblas_ger_kernelILi32ELi32ELi2ELb0EddPKPKdPKPdEviiT4_lT5_lllS8_lllT6_lmli
		.amdhsa_group_segment_fixed_size 768
		.amdhsa_private_segment_fixed_size 0
		.amdhsa_kernarg_size 124
		.amdhsa_user_sgpr_count 6
		.amdhsa_user_sgpr_private_segment_buffer 1
		.amdhsa_user_sgpr_dispatch_ptr 0
		.amdhsa_user_sgpr_queue_ptr 0
		.amdhsa_user_sgpr_kernarg_segment_ptr 1
		.amdhsa_user_sgpr_dispatch_id 0
		.amdhsa_user_sgpr_flat_scratch_init 0
		.amdhsa_user_sgpr_private_segment_size 0
		.amdhsa_uses_dynamic_stack 0
		.amdhsa_system_sgpr_private_segment_wavefront_offset 0
		.amdhsa_system_sgpr_workgroup_id_x 1
		.amdhsa_system_sgpr_workgroup_id_y 0
		.amdhsa_system_sgpr_workgroup_id_z 1
		.amdhsa_system_sgpr_workgroup_info 0
		.amdhsa_system_vgpr_workitem_id 1
		.amdhsa_next_free_vgpr 12
		.amdhsa_next_free_sgpr 24
		.amdhsa_reserve_vcc 1
		.amdhsa_reserve_flat_scratch 0
		.amdhsa_float_round_mode_32 0
		.amdhsa_float_round_mode_16_64 0
		.amdhsa_float_denorm_mode_32 3
		.amdhsa_float_denorm_mode_16_64 3
		.amdhsa_dx10_clamp 1
		.amdhsa_ieee_mode 1
		.amdhsa_fp16_overflow 0
		.amdhsa_exception_fp_ieee_invalid_op 0
		.amdhsa_exception_fp_denorm_src 0
		.amdhsa_exception_fp_ieee_div_zero 0
		.amdhsa_exception_fp_ieee_overflow 0
		.amdhsa_exception_fp_ieee_underflow 0
		.amdhsa_exception_fp_ieee_inexact 0
		.amdhsa_exception_int_div_zero 0
	.end_amdhsa_kernel
	.section	.text._ZL18rocblas_ger_kernelILi32ELi32ELi2ELb0EddPKPKdPKPdEviiT4_lT5_lllS8_lllT6_lmli,"axG",@progbits,_ZL18rocblas_ger_kernelILi32ELi32ELi2ELb0EddPKPKdPKPdEviiT4_lT5_lllS8_lllT6_lmli,comdat
.Lfunc_end47:
	.size	_ZL18rocblas_ger_kernelILi32ELi32ELi2ELb0EddPKPKdPKPdEviiT4_lT5_lllS8_lllT6_lmli, .Lfunc_end47-_ZL18rocblas_ger_kernelILi32ELi32ELi2ELb0EddPKPKdPKPdEviiT4_lT5_lllS8_lllT6_lmli
                                        ; -- End function
	.set _ZL18rocblas_ger_kernelILi32ELi32ELi2ELb0EddPKPKdPKPdEviiT4_lT5_lllS8_lllT6_lmli.num_vgpr, 12
	.set _ZL18rocblas_ger_kernelILi32ELi32ELi2ELb0EddPKPKdPKPdEviiT4_lT5_lllS8_lllT6_lmli.num_agpr, 0
	.set _ZL18rocblas_ger_kernelILi32ELi32ELi2ELb0EddPKPKdPKPdEviiT4_lT5_lllS8_lllT6_lmli.numbered_sgpr, 24
	.set _ZL18rocblas_ger_kernelILi32ELi32ELi2ELb0EddPKPKdPKPdEviiT4_lT5_lllS8_lllT6_lmli.num_named_barrier, 0
	.set _ZL18rocblas_ger_kernelILi32ELi32ELi2ELb0EddPKPKdPKPdEviiT4_lT5_lllS8_lllT6_lmli.private_seg_size, 0
	.set _ZL18rocblas_ger_kernelILi32ELi32ELi2ELb0EddPKPKdPKPdEviiT4_lT5_lllS8_lllT6_lmli.uses_vcc, 1
	.set _ZL18rocblas_ger_kernelILi32ELi32ELi2ELb0EddPKPKdPKPdEviiT4_lT5_lllS8_lllT6_lmli.uses_flat_scratch, 0
	.set _ZL18rocblas_ger_kernelILi32ELi32ELi2ELb0EddPKPKdPKPdEviiT4_lT5_lllS8_lllT6_lmli.has_dyn_sized_stack, 0
	.set _ZL18rocblas_ger_kernelILi32ELi32ELi2ELb0EddPKPKdPKPdEviiT4_lT5_lllS8_lllT6_lmli.has_recursion, 0
	.set _ZL18rocblas_ger_kernelILi32ELi32ELi2ELb0EddPKPKdPKPdEviiT4_lT5_lllS8_lllT6_lmli.has_indirect_call, 0
	.section	.AMDGPU.csdata,"",@progbits
; Kernel info:
; codeLenInByte = 844
; TotalNumSgprs: 28
; NumVgprs: 12
; ScratchSize: 0
; MemoryBound: 0
; FloatMode: 240
; IeeeMode: 1
; LDSByteSize: 768 bytes/workgroup (compile time only)
; SGPRBlocks: 3
; VGPRBlocks: 2
; NumSGPRsForWavesPerEU: 28
; NumVGPRsForWavesPerEU: 12
; Occupancy: 10
; WaveLimiterHint : 1
; COMPUTE_PGM_RSRC2:SCRATCH_EN: 0
; COMPUTE_PGM_RSRC2:USER_SGPR: 6
; COMPUTE_PGM_RSRC2:TRAP_HANDLER: 0
; COMPUTE_PGM_RSRC2:TGID_X_EN: 1
; COMPUTE_PGM_RSRC2:TGID_Y_EN: 0
; COMPUTE_PGM_RSRC2:TGID_Z_EN: 1
; COMPUTE_PGM_RSRC2:TIDIG_COMP_CNT: 1
	.section	.text._ZL34rocblas_ger_double_buffered_kernelILb0ELi64ELi16ELi2E19rocblas_complex_numIfE24rocblas_internal_val_ptrIS1_EPKPKS1_PKPS1_EvbiiT4_lT5_lllSC_lllT6_lmli,"axG",@progbits,_ZL34rocblas_ger_double_buffered_kernelILb0ELi64ELi16ELi2E19rocblas_complex_numIfE24rocblas_internal_val_ptrIS1_EPKPKS1_PKPS1_EvbiiT4_lT5_lllSC_lllT6_lmli,comdat
	.globl	_ZL34rocblas_ger_double_buffered_kernelILb0ELi64ELi16ELi2E19rocblas_complex_numIfE24rocblas_internal_val_ptrIS1_EPKPKS1_PKPS1_EvbiiT4_lT5_lllSC_lllT6_lmli ; -- Begin function _ZL34rocblas_ger_double_buffered_kernelILb0ELi64ELi16ELi2E19rocblas_complex_numIfE24rocblas_internal_val_ptrIS1_EPKPKS1_PKPS1_EvbiiT4_lT5_lllSC_lllT6_lmli
	.p2align	8
	.type	_ZL34rocblas_ger_double_buffered_kernelILb0ELi64ELi16ELi2E19rocblas_complex_numIfE24rocblas_internal_val_ptrIS1_EPKPKS1_PKPS1_EvbiiT4_lT5_lllSC_lllT6_lmli,@function
_ZL34rocblas_ger_double_buffered_kernelILb0ELi64ELi16ELi2E19rocblas_complex_numIfE24rocblas_internal_val_ptrIS1_EPKPKS1_PKPS1_EvbiiT4_lT5_lllSC_lllT6_lmli: ; @_ZL34rocblas_ger_double_buffered_kernelILb0ELi64ELi16ELi2E19rocblas_complex_numIfE24rocblas_internal_val_ptrIS1_EPKPKS1_PKPS1_EvbiiT4_lT5_lllSC_lllT6_lmli
; %bb.0:
	s_load_dword s9, s[4:5], 0x0
	s_load_dwordx4 s[0:3], s[4:5], 0x10
	s_waitcnt lgkmcnt(0)
	s_bitcmp0_b32 s9, 0
	s_mov_b32 s9, 0
	s_cbranch_scc0 .LBB48_2
; %bb.1:
	s_mul_i32 s3, s3, s8
	s_mul_hi_u32 s10, s2, s8
	s_add_i32 s3, s10, s3
	s_mul_i32 s2, s2, s8
	s_lshl_b64 s[2:3], s[2:3], 3
	s_add_u32 s2, s0, s2
	s_addc_u32 s3, s1, s3
	s_load_dwordx2 s[16:17], s[2:3], 0x0
	s_cbranch_execz .LBB48_3
	s_branch .LBB48_4
.LBB48_2:
                                        ; implicit-def: $sgpr16
.LBB48_3:
	s_waitcnt lgkmcnt(0)
	s_mov_b32 s17, s1
	s_mov_b32 s16, s0
.LBB48_4:
	s_waitcnt lgkmcnt(0)
	v_cmp_neq_f32_e64 s[0:1], s16, 0
	v_cmp_neq_f32_e64 s[2:3], s17, 0
	s_or_b64 s[0:1], s[0:1], s[2:3]
	s_andn2_b64 vcc, exec, s[0:1]
	s_cbranch_vccnz .LBB48_6
; %bb.5:
	s_load_dwordx2 s[0:1], s[4:5], 0x60
	s_load_dwordx4 s[12:15], s[4:5], 0x68
	s_lshl_b64 s[18:19], s[8:9], 3
	v_lshl_add_u32 v1, v1, 6, v0
	v_lshrrev_b32_e32 v10, 4, v1
	s_waitcnt lgkmcnt(0)
	s_add_u32 s0, s0, s18
	s_addc_u32 s1, s1, s19
	s_load_dwordx2 s[2:3], s[0:1], 0x0
	s_load_dwordx2 s[20:21], s[4:5], 0x40
	s_load_dwordx4 s[8:11], s[4:5], 0x48
	s_lshl_b64 s[0:1], s[12:13], 3
	v_and_b32_e32 v0, 31, v0
	s_waitcnt lgkmcnt(0)
	s_add_u32 s24, s2, s0
	s_addc_u32 s25, s3, s1
	s_add_u32 s12, s20, s18
	s_addc_u32 s13, s21, s19
	s_load_dwordx2 s[20:21], s[12:13], 0x0
	s_load_dwordx2 s[22:23], s[4:5], 0x20
	s_load_dwordx4 s[0:3], s[4:5], 0x28
	s_lshl_b64 s[4:5], s[8:9], 3
	v_and_b32_e32 v9, 0x1ffe, v10
	s_waitcnt lgkmcnt(0)
	s_add_u32 s8, s20, s4
	s_addc_u32 s9, s21, s5
	s_add_u32 s4, s22, s18
	s_addc_u32 s5, s23, s19
	s_load_dwordx2 s[4:5], s[4:5], 0x0
	s_lshl_b64 s[0:1], s[0:1], 3
	v_or_b32_e32 v11, 1, v10
	v_or_b32_e32 v13, 32, v0
	s_waitcnt lgkmcnt(0)
	s_add_u32 s12, s4, s0
	s_addc_u32 s13, s5, s1
	s_lshl_b32 s0, s6, 6
	s_ashr_i32 s1, s0, 31
	s_lshl_b64 s[4:5], s[0:1], 3
	s_add_u32 s6, s24, s4
	s_addc_u32 s18, s25, s5
	s_lshl_b32 s7, s7, 6
	s_ashr_i32 s19, s7, 31
	s_mul_hi_u32 s5, s14, s7
	s_mul_i32 s21, s14, s19
	s_mul_i32 s20, s15, s7
	s_add_i32 s5, s5, s21
	s_mul_i32 s4, s14, s7
	s_add_i32 s5, s5, s20
	s_lshl_b64 s[4:5], s[4:5], 3
	s_add_u32 s4, s6, s4
	s_mul_i32 s1, s2, s1
	s_mul_hi_u32 s6, s2, s0
	s_addc_u32 s5, s18, s5
	s_add_i32 s1, s6, s1
	s_mul_i32 s6, s3, s0
	s_add_i32 s1, s1, s6
	s_mul_i32 s0, s2, s0
	s_lshl_b64 s[0:1], s[0:1], 3
	s_add_u32 s12, s12, s0
	s_addc_u32 s13, s13, s1
	s_mul_i32 s0, s10, s19
	s_mul_hi_u32 s1, s10, s7
	s_add_i32 s6, s1, s0
	v_mad_u64_u32 v[1:2], s[0:1], s14, v9, 0
	v_mad_u64_u32 v[3:4], s[0:1], s2, v0, 0
	s_mul_i32 s18, s11, s7
	v_mad_u64_u32 v[5:6], s[0:1], s15, v9, v[2:3]
	v_mov_b32_e32 v2, v4
	v_mad_u64_u32 v[6:7], s[0:1], s3, v0, v[2:3]
	v_mov_b32_e32 v2, v5
	s_add_i32 s1, s6, s18
	v_mov_b32_e32 v4, v6
	v_lshlrev_b64 v[3:4], 3, v[3:4]
	s_mul_i32 s0, s10, s7
	v_mov_b32_e32 v5, s13
	v_add_co_u32_e32 v3, vcc, s12, v3
	v_lshlrev_b64 v[1:2], 3, v[1:2]
	v_mad_u64_u32 v[7:8], s[6:7], s10, v9, 0
	v_addc_co_u32_e32 v4, vcc, v5, v4, vcc
	v_mov_b32_e32 v5, s5
	v_add_co_u32_e32 v1, vcc, s4, v1
	s_lshl_b64 s[4:5], s[14:15], 3
	s_lshl_b64 s[0:1], s[0:1], 3
	s_add_u32 s6, s8, s0
	s_addc_u32 s7, s9, s1
	v_mad_u64_u32 v[8:9], s[0:1], s11, v9, v[8:9]
	v_mad_u64_u32 v[9:10], s[0:1], s10, v11, 0
	v_addc_co_u32_e32 v2, vcc, v5, v2, vcc
	v_mad_u64_u32 v[10:11], s[0:1], s11, v11, v[10:11]
	v_lshlrev_b32_e32 v5, 3, v0
	v_add_co_u32_e32 v1, vcc, v1, v5
	v_lshlrev_b64 v[7:8], 3, v[7:8]
	v_addc_co_u32_e32 v2, vcc, 0, v2, vcc
	flat_load_dwordx2 v[3:4], v[3:4]
	v_mov_b32_e32 v12, s7
	v_add_co_u32_e32 v7, vcc, s6, v7
	v_lshlrev_b64 v[9:10], 3, v[9:10]
	v_addc_co_u32_e32 v8, vcc, v12, v8, vcc
	flat_load_dwordx2 v[7:8], v[7:8]
	v_mov_b32_e32 v11, s7
	v_add_co_u32_e32 v9, vcc, s6, v9
	v_addc_co_u32_e32 v10, vcc, v11, v10, vcc
	flat_load_dwordx2 v[5:6], v[1:2]
	v_mad_u64_u32 v[11:12], s[0:1], s2, v13, 0
	flat_load_dwordx2 v[9:10], v[9:10]
	v_mov_b32_e32 v14, s5
	v_mov_b32_e32 v0, v12
	v_mad_u64_u32 v[12:13], s[0:1], s3, v13, v[0:1]
	v_mov_b32_e32 v0, s13
	v_lshlrev_b64 v[11:12], 3, v[11:12]
	v_add_co_u32_e32 v11, vcc, s12, v11
	v_addc_co_u32_e32 v12, vcc, v0, v12, vcc
	v_add_co_u32_e32 v13, vcc, s4, v1
	v_addc_co_u32_e32 v14, vcc, v2, v14, vcc
	flat_load_dwordx2 v[11:12], v[11:12]
	s_nop 0
	flat_load_dwordx2 v[15:16], v[13:14] offset:256
	flat_load_dwordx2 v[17:18], v[1:2] offset:256
	s_waitcnt vmcnt(0) lgkmcnt(0)
	v_mul_f32_e32 v19, s16, v4
	v_mul_f32_e32 v0, s17, v4
	v_fmac_f32_e32 v19, s17, v3
	v_fma_f32 v0, s16, v3, -v0
	v_mul_f32_e32 v3, v19, v8
	v_fma_f32 v3, v0, v7, -v3
	v_mul_f32_e32 v4, v0, v8
	v_fmac_f32_e32 v4, v19, v7
	v_add_f32_e32 v3, v5, v3
	v_add_f32_e32 v4, v4, v6
	v_mul_f32_e32 v5, v19, v10
	v_fma_f32 v20, v0, v9, -v5
	flat_load_dwordx2 v[5:6], v[13:14]
	v_mul_f32_e32 v0, v0, v10
	v_fmac_f32_e32 v0, v19, v9
	s_waitcnt vmcnt(0) lgkmcnt(0)
	v_add_f32_e32 v6, v0, v6
	v_mul_f32_e32 v0, s17, v12
	v_mul_f32_e32 v12, s16, v12
	v_add_f32_e32 v5, v5, v20
	v_fma_f32 v0, s16, v11, -v0
	v_fmac_f32_e32 v12, s17, v11
	flat_store_dwordx2 v[1:2], v[3:4]
	flat_store_dwordx2 v[13:14], v[5:6]
	v_mul_f32_e32 v3, v12, v8
	v_mul_f32_e32 v4, v0, v8
	;; [unrolled: 1-line block ×3, first 2 shown]
	v_fma_f32 v3, v0, v7, -v3
	v_fmac_f32_e32 v4, v12, v7
	v_fma_f32 v5, v0, v9, -v5
	v_mul_f32_e32 v0, v0, v10
	v_add_f32_e32 v3, v17, v3
	v_add_f32_e32 v4, v4, v18
	v_fmac_f32_e32 v0, v12, v9
	v_add_f32_e32 v5, v15, v5
	v_add_f32_e32 v6, v0, v16
	flat_store_dwordx2 v[1:2], v[3:4] offset:256
	flat_store_dwordx2 v[13:14], v[5:6] offset:256
.LBB48_6:
	s_endpgm
	.section	.rodata,"a",@progbits
	.p2align	6, 0x0
	.amdhsa_kernel _ZL34rocblas_ger_double_buffered_kernelILb0ELi64ELi16ELi2E19rocblas_complex_numIfE24rocblas_internal_val_ptrIS1_EPKPKS1_PKPS1_EvbiiT4_lT5_lllSC_lllT6_lmli
		.amdhsa_group_segment_fixed_size 0
		.amdhsa_private_segment_fixed_size 0
		.amdhsa_kernarg_size 132
		.amdhsa_user_sgpr_count 6
		.amdhsa_user_sgpr_private_segment_buffer 1
		.amdhsa_user_sgpr_dispatch_ptr 0
		.amdhsa_user_sgpr_queue_ptr 0
		.amdhsa_user_sgpr_kernarg_segment_ptr 1
		.amdhsa_user_sgpr_dispatch_id 0
		.amdhsa_user_sgpr_flat_scratch_init 0
		.amdhsa_user_sgpr_private_segment_size 0
		.amdhsa_uses_dynamic_stack 0
		.amdhsa_system_sgpr_private_segment_wavefront_offset 0
		.amdhsa_system_sgpr_workgroup_id_x 1
		.amdhsa_system_sgpr_workgroup_id_y 1
		.amdhsa_system_sgpr_workgroup_id_z 1
		.amdhsa_system_sgpr_workgroup_info 0
		.amdhsa_system_vgpr_workitem_id 1
		.amdhsa_next_free_vgpr 21
		.amdhsa_next_free_sgpr 26
		.amdhsa_reserve_vcc 1
		.amdhsa_reserve_flat_scratch 0
		.amdhsa_float_round_mode_32 0
		.amdhsa_float_round_mode_16_64 0
		.amdhsa_float_denorm_mode_32 3
		.amdhsa_float_denorm_mode_16_64 3
		.amdhsa_dx10_clamp 1
		.amdhsa_ieee_mode 1
		.amdhsa_fp16_overflow 0
		.amdhsa_exception_fp_ieee_invalid_op 0
		.amdhsa_exception_fp_denorm_src 0
		.amdhsa_exception_fp_ieee_div_zero 0
		.amdhsa_exception_fp_ieee_overflow 0
		.amdhsa_exception_fp_ieee_underflow 0
		.amdhsa_exception_fp_ieee_inexact 0
		.amdhsa_exception_int_div_zero 0
	.end_amdhsa_kernel
	.section	.text._ZL34rocblas_ger_double_buffered_kernelILb0ELi64ELi16ELi2E19rocblas_complex_numIfE24rocblas_internal_val_ptrIS1_EPKPKS1_PKPS1_EvbiiT4_lT5_lllSC_lllT6_lmli,"axG",@progbits,_ZL34rocblas_ger_double_buffered_kernelILb0ELi64ELi16ELi2E19rocblas_complex_numIfE24rocblas_internal_val_ptrIS1_EPKPKS1_PKPS1_EvbiiT4_lT5_lllSC_lllT6_lmli,comdat
.Lfunc_end48:
	.size	_ZL34rocblas_ger_double_buffered_kernelILb0ELi64ELi16ELi2E19rocblas_complex_numIfE24rocblas_internal_val_ptrIS1_EPKPKS1_PKPS1_EvbiiT4_lT5_lllSC_lllT6_lmli, .Lfunc_end48-_ZL34rocblas_ger_double_buffered_kernelILb0ELi64ELi16ELi2E19rocblas_complex_numIfE24rocblas_internal_val_ptrIS1_EPKPKS1_PKPS1_EvbiiT4_lT5_lllSC_lllT6_lmli
                                        ; -- End function
	.set _ZL34rocblas_ger_double_buffered_kernelILb0ELi64ELi16ELi2E19rocblas_complex_numIfE24rocblas_internal_val_ptrIS1_EPKPKS1_PKPS1_EvbiiT4_lT5_lllSC_lllT6_lmli.num_vgpr, 21
	.set _ZL34rocblas_ger_double_buffered_kernelILb0ELi64ELi16ELi2E19rocblas_complex_numIfE24rocblas_internal_val_ptrIS1_EPKPKS1_PKPS1_EvbiiT4_lT5_lllSC_lllT6_lmli.num_agpr, 0
	.set _ZL34rocblas_ger_double_buffered_kernelILb0ELi64ELi16ELi2E19rocblas_complex_numIfE24rocblas_internal_val_ptrIS1_EPKPKS1_PKPS1_EvbiiT4_lT5_lllSC_lllT6_lmli.numbered_sgpr, 26
	.set _ZL34rocblas_ger_double_buffered_kernelILb0ELi64ELi16ELi2E19rocblas_complex_numIfE24rocblas_internal_val_ptrIS1_EPKPKS1_PKPS1_EvbiiT4_lT5_lllSC_lllT6_lmli.num_named_barrier, 0
	.set _ZL34rocblas_ger_double_buffered_kernelILb0ELi64ELi16ELi2E19rocblas_complex_numIfE24rocblas_internal_val_ptrIS1_EPKPKS1_PKPS1_EvbiiT4_lT5_lllSC_lllT6_lmli.private_seg_size, 0
	.set _ZL34rocblas_ger_double_buffered_kernelILb0ELi64ELi16ELi2E19rocblas_complex_numIfE24rocblas_internal_val_ptrIS1_EPKPKS1_PKPS1_EvbiiT4_lT5_lllSC_lllT6_lmli.uses_vcc, 1
	.set _ZL34rocblas_ger_double_buffered_kernelILb0ELi64ELi16ELi2E19rocblas_complex_numIfE24rocblas_internal_val_ptrIS1_EPKPKS1_PKPS1_EvbiiT4_lT5_lllSC_lllT6_lmli.uses_flat_scratch, 0
	.set _ZL34rocblas_ger_double_buffered_kernelILb0ELi64ELi16ELi2E19rocblas_complex_numIfE24rocblas_internal_val_ptrIS1_EPKPKS1_PKPS1_EvbiiT4_lT5_lllSC_lllT6_lmli.has_dyn_sized_stack, 0
	.set _ZL34rocblas_ger_double_buffered_kernelILb0ELi64ELi16ELi2E19rocblas_complex_numIfE24rocblas_internal_val_ptrIS1_EPKPKS1_PKPS1_EvbiiT4_lT5_lllSC_lllT6_lmli.has_recursion, 0
	.set _ZL34rocblas_ger_double_buffered_kernelILb0ELi64ELi16ELi2E19rocblas_complex_numIfE24rocblas_internal_val_ptrIS1_EPKPKS1_PKPS1_EvbiiT4_lT5_lllSC_lllT6_lmli.has_indirect_call, 0
	.section	.AMDGPU.csdata,"",@progbits
; Kernel info:
; codeLenInByte = 928
; TotalNumSgprs: 30
; NumVgprs: 21
; ScratchSize: 0
; MemoryBound: 0
; FloatMode: 240
; IeeeMode: 1
; LDSByteSize: 0 bytes/workgroup (compile time only)
; SGPRBlocks: 3
; VGPRBlocks: 5
; NumSGPRsForWavesPerEU: 30
; NumVGPRsForWavesPerEU: 21
; Occupancy: 10
; WaveLimiterHint : 1
; COMPUTE_PGM_RSRC2:SCRATCH_EN: 0
; COMPUTE_PGM_RSRC2:USER_SGPR: 6
; COMPUTE_PGM_RSRC2:TRAP_HANDLER: 0
; COMPUTE_PGM_RSRC2:TGID_X_EN: 1
; COMPUTE_PGM_RSRC2:TGID_Y_EN: 1
; COMPUTE_PGM_RSRC2:TGID_Z_EN: 1
; COMPUTE_PGM_RSRC2:TIDIG_COMP_CNT: 1
	.section	.text._ZL26rocblas_sger_gfx942_kernelILi256E19rocblas_complex_numIfEPKS1_PKS3_PKPS1_EviiT1_lT2_lllSA_lllT3_lll,"axG",@progbits,_ZL26rocblas_sger_gfx942_kernelILi256E19rocblas_complex_numIfEPKS1_PKS3_PKPS1_EviiT1_lT2_lllSA_lllT3_lll,comdat
	.globl	_ZL26rocblas_sger_gfx942_kernelILi256E19rocblas_complex_numIfEPKS1_PKS3_PKPS1_EviiT1_lT2_lllSA_lllT3_lll ; -- Begin function _ZL26rocblas_sger_gfx942_kernelILi256E19rocblas_complex_numIfEPKS1_PKS3_PKPS1_EviiT1_lT2_lllSA_lllT3_lll
	.p2align	8
	.type	_ZL26rocblas_sger_gfx942_kernelILi256E19rocblas_complex_numIfEPKS1_PKS3_PKPS1_EviiT1_lT2_lllSA_lllT3_lll,@function
_ZL26rocblas_sger_gfx942_kernelILi256E19rocblas_complex_numIfEPKS1_PKS3_PKPS1_EviiT1_lT2_lllSA_lllT3_lll: ; @_ZL26rocblas_sger_gfx942_kernelILi256E19rocblas_complex_numIfEPKS1_PKS3_PKPS1_EviiT1_lT2_lllSA_lllT3_lll
; %bb.0:
	s_endpgm
	.section	.rodata,"a",@progbits
	.p2align	6, 0x0
	.amdhsa_kernel _ZL26rocblas_sger_gfx942_kernelILi256E19rocblas_complex_numIfEPKS1_PKS3_PKPS1_EviiT1_lT2_lllSA_lllT3_lll
		.amdhsa_group_segment_fixed_size 0
		.amdhsa_private_segment_fixed_size 0
		.amdhsa_kernarg_size 120
		.amdhsa_user_sgpr_count 6
		.amdhsa_user_sgpr_private_segment_buffer 1
		.amdhsa_user_sgpr_dispatch_ptr 0
		.amdhsa_user_sgpr_queue_ptr 0
		.amdhsa_user_sgpr_kernarg_segment_ptr 1
		.amdhsa_user_sgpr_dispatch_id 0
		.amdhsa_user_sgpr_flat_scratch_init 0
		.amdhsa_user_sgpr_private_segment_size 0
		.amdhsa_uses_dynamic_stack 0
		.amdhsa_system_sgpr_private_segment_wavefront_offset 0
		.amdhsa_system_sgpr_workgroup_id_x 1
		.amdhsa_system_sgpr_workgroup_id_y 0
		.amdhsa_system_sgpr_workgroup_id_z 0
		.amdhsa_system_sgpr_workgroup_info 0
		.amdhsa_system_vgpr_workitem_id 0
		.amdhsa_next_free_vgpr 1
		.amdhsa_next_free_sgpr 0
		.amdhsa_reserve_vcc 0
		.amdhsa_reserve_flat_scratch 0
		.amdhsa_float_round_mode_32 0
		.amdhsa_float_round_mode_16_64 0
		.amdhsa_float_denorm_mode_32 3
		.amdhsa_float_denorm_mode_16_64 3
		.amdhsa_dx10_clamp 1
		.amdhsa_ieee_mode 1
		.amdhsa_fp16_overflow 0
		.amdhsa_exception_fp_ieee_invalid_op 0
		.amdhsa_exception_fp_denorm_src 0
		.amdhsa_exception_fp_ieee_div_zero 0
		.amdhsa_exception_fp_ieee_overflow 0
		.amdhsa_exception_fp_ieee_underflow 0
		.amdhsa_exception_fp_ieee_inexact 0
		.amdhsa_exception_int_div_zero 0
	.end_amdhsa_kernel
	.section	.text._ZL26rocblas_sger_gfx942_kernelILi256E19rocblas_complex_numIfEPKS1_PKS3_PKPS1_EviiT1_lT2_lllSA_lllT3_lll,"axG",@progbits,_ZL26rocblas_sger_gfx942_kernelILi256E19rocblas_complex_numIfEPKS1_PKS3_PKPS1_EviiT1_lT2_lllSA_lllT3_lll,comdat
.Lfunc_end49:
	.size	_ZL26rocblas_sger_gfx942_kernelILi256E19rocblas_complex_numIfEPKS1_PKS3_PKPS1_EviiT1_lT2_lllSA_lllT3_lll, .Lfunc_end49-_ZL26rocblas_sger_gfx942_kernelILi256E19rocblas_complex_numIfEPKS1_PKS3_PKPS1_EviiT1_lT2_lllSA_lllT3_lll
                                        ; -- End function
	.set _ZL26rocblas_sger_gfx942_kernelILi256E19rocblas_complex_numIfEPKS1_PKS3_PKPS1_EviiT1_lT2_lllSA_lllT3_lll.num_vgpr, 0
	.set _ZL26rocblas_sger_gfx942_kernelILi256E19rocblas_complex_numIfEPKS1_PKS3_PKPS1_EviiT1_lT2_lllSA_lllT3_lll.num_agpr, 0
	.set _ZL26rocblas_sger_gfx942_kernelILi256E19rocblas_complex_numIfEPKS1_PKS3_PKPS1_EviiT1_lT2_lllSA_lllT3_lll.numbered_sgpr, 0
	.set _ZL26rocblas_sger_gfx942_kernelILi256E19rocblas_complex_numIfEPKS1_PKS3_PKPS1_EviiT1_lT2_lllSA_lllT3_lll.num_named_barrier, 0
	.set _ZL26rocblas_sger_gfx942_kernelILi256E19rocblas_complex_numIfEPKS1_PKS3_PKPS1_EviiT1_lT2_lllSA_lllT3_lll.private_seg_size, 0
	.set _ZL26rocblas_sger_gfx942_kernelILi256E19rocblas_complex_numIfEPKS1_PKS3_PKPS1_EviiT1_lT2_lllSA_lllT3_lll.uses_vcc, 0
	.set _ZL26rocblas_sger_gfx942_kernelILi256E19rocblas_complex_numIfEPKS1_PKS3_PKPS1_EviiT1_lT2_lllSA_lllT3_lll.uses_flat_scratch, 0
	.set _ZL26rocblas_sger_gfx942_kernelILi256E19rocblas_complex_numIfEPKS1_PKS3_PKPS1_EviiT1_lT2_lllSA_lllT3_lll.has_dyn_sized_stack, 0
	.set _ZL26rocblas_sger_gfx942_kernelILi256E19rocblas_complex_numIfEPKS1_PKS3_PKPS1_EviiT1_lT2_lllSA_lllT3_lll.has_recursion, 0
	.set _ZL26rocblas_sger_gfx942_kernelILi256E19rocblas_complex_numIfEPKS1_PKS3_PKPS1_EviiT1_lT2_lllSA_lllT3_lll.has_indirect_call, 0
	.section	.AMDGPU.csdata,"",@progbits
; Kernel info:
; codeLenInByte = 4
; TotalNumSgprs: 4
; NumVgprs: 0
; ScratchSize: 0
; MemoryBound: 0
; FloatMode: 240
; IeeeMode: 1
; LDSByteSize: 0 bytes/workgroup (compile time only)
; SGPRBlocks: 0
; VGPRBlocks: 0
; NumSGPRsForWavesPerEU: 4
; NumVGPRsForWavesPerEU: 1
; Occupancy: 10
; WaveLimiterHint : 0
; COMPUTE_PGM_RSRC2:SCRATCH_EN: 0
; COMPUTE_PGM_RSRC2:USER_SGPR: 6
; COMPUTE_PGM_RSRC2:TRAP_HANDLER: 0
; COMPUTE_PGM_RSRC2:TGID_X_EN: 1
; COMPUTE_PGM_RSRC2:TGID_Y_EN: 0
; COMPUTE_PGM_RSRC2:TGID_Z_EN: 0
; COMPUTE_PGM_RSRC2:TIDIG_COMP_CNT: 0
	.section	.text._ZL26rocblas_sger_gfx942_kernelILi256E19rocblas_complex_numIfES1_PKPKS1_PKPS1_EviiT1_lT2_lllSA_lllT3_lll,"axG",@progbits,_ZL26rocblas_sger_gfx942_kernelILi256E19rocblas_complex_numIfES1_PKPKS1_PKPS1_EviiT1_lT2_lllSA_lllT3_lll,comdat
	.globl	_ZL26rocblas_sger_gfx942_kernelILi256E19rocblas_complex_numIfES1_PKPKS1_PKPS1_EviiT1_lT2_lllSA_lllT3_lll ; -- Begin function _ZL26rocblas_sger_gfx942_kernelILi256E19rocblas_complex_numIfES1_PKPKS1_PKPS1_EviiT1_lT2_lllSA_lllT3_lll
	.p2align	8
	.type	_ZL26rocblas_sger_gfx942_kernelILi256E19rocblas_complex_numIfES1_PKPKS1_PKPS1_EviiT1_lT2_lllSA_lllT3_lll,@function
_ZL26rocblas_sger_gfx942_kernelILi256E19rocblas_complex_numIfES1_PKPKS1_PKPS1_EviiT1_lT2_lllSA_lllT3_lll: ; @_ZL26rocblas_sger_gfx942_kernelILi256E19rocblas_complex_numIfES1_PKPKS1_PKPS1_EviiT1_lT2_lllSA_lllT3_lll
; %bb.0:
	s_endpgm
	.section	.rodata,"a",@progbits
	.p2align	6, 0x0
	.amdhsa_kernel _ZL26rocblas_sger_gfx942_kernelILi256E19rocblas_complex_numIfES1_PKPKS1_PKPS1_EviiT1_lT2_lllSA_lllT3_lll
		.amdhsa_group_segment_fixed_size 0
		.amdhsa_private_segment_fixed_size 0
		.amdhsa_kernarg_size 120
		.amdhsa_user_sgpr_count 6
		.amdhsa_user_sgpr_private_segment_buffer 1
		.amdhsa_user_sgpr_dispatch_ptr 0
		.amdhsa_user_sgpr_queue_ptr 0
		.amdhsa_user_sgpr_kernarg_segment_ptr 1
		.amdhsa_user_sgpr_dispatch_id 0
		.amdhsa_user_sgpr_flat_scratch_init 0
		.amdhsa_user_sgpr_private_segment_size 0
		.amdhsa_uses_dynamic_stack 0
		.amdhsa_system_sgpr_private_segment_wavefront_offset 0
		.amdhsa_system_sgpr_workgroup_id_x 1
		.amdhsa_system_sgpr_workgroup_id_y 0
		.amdhsa_system_sgpr_workgroup_id_z 0
		.amdhsa_system_sgpr_workgroup_info 0
		.amdhsa_system_vgpr_workitem_id 0
		.amdhsa_next_free_vgpr 1
		.amdhsa_next_free_sgpr 0
		.amdhsa_reserve_vcc 0
		.amdhsa_reserve_flat_scratch 0
		.amdhsa_float_round_mode_32 0
		.amdhsa_float_round_mode_16_64 0
		.amdhsa_float_denorm_mode_32 3
		.amdhsa_float_denorm_mode_16_64 3
		.amdhsa_dx10_clamp 1
		.amdhsa_ieee_mode 1
		.amdhsa_fp16_overflow 0
		.amdhsa_exception_fp_ieee_invalid_op 0
		.amdhsa_exception_fp_denorm_src 0
		.amdhsa_exception_fp_ieee_div_zero 0
		.amdhsa_exception_fp_ieee_overflow 0
		.amdhsa_exception_fp_ieee_underflow 0
		.amdhsa_exception_fp_ieee_inexact 0
		.amdhsa_exception_int_div_zero 0
	.end_amdhsa_kernel
	.section	.text._ZL26rocblas_sger_gfx942_kernelILi256E19rocblas_complex_numIfES1_PKPKS1_PKPS1_EviiT1_lT2_lllSA_lllT3_lll,"axG",@progbits,_ZL26rocblas_sger_gfx942_kernelILi256E19rocblas_complex_numIfES1_PKPKS1_PKPS1_EviiT1_lT2_lllSA_lllT3_lll,comdat
.Lfunc_end50:
	.size	_ZL26rocblas_sger_gfx942_kernelILi256E19rocblas_complex_numIfES1_PKPKS1_PKPS1_EviiT1_lT2_lllSA_lllT3_lll, .Lfunc_end50-_ZL26rocblas_sger_gfx942_kernelILi256E19rocblas_complex_numIfES1_PKPKS1_PKPS1_EviiT1_lT2_lllSA_lllT3_lll
                                        ; -- End function
	.set _ZL26rocblas_sger_gfx942_kernelILi256E19rocblas_complex_numIfES1_PKPKS1_PKPS1_EviiT1_lT2_lllSA_lllT3_lll.num_vgpr, 0
	.set _ZL26rocblas_sger_gfx942_kernelILi256E19rocblas_complex_numIfES1_PKPKS1_PKPS1_EviiT1_lT2_lllSA_lllT3_lll.num_agpr, 0
	.set _ZL26rocblas_sger_gfx942_kernelILi256E19rocblas_complex_numIfES1_PKPKS1_PKPS1_EviiT1_lT2_lllSA_lllT3_lll.numbered_sgpr, 0
	.set _ZL26rocblas_sger_gfx942_kernelILi256E19rocblas_complex_numIfES1_PKPKS1_PKPS1_EviiT1_lT2_lllSA_lllT3_lll.num_named_barrier, 0
	.set _ZL26rocblas_sger_gfx942_kernelILi256E19rocblas_complex_numIfES1_PKPKS1_PKPS1_EviiT1_lT2_lllSA_lllT3_lll.private_seg_size, 0
	.set _ZL26rocblas_sger_gfx942_kernelILi256E19rocblas_complex_numIfES1_PKPKS1_PKPS1_EviiT1_lT2_lllSA_lllT3_lll.uses_vcc, 0
	.set _ZL26rocblas_sger_gfx942_kernelILi256E19rocblas_complex_numIfES1_PKPKS1_PKPS1_EviiT1_lT2_lllSA_lllT3_lll.uses_flat_scratch, 0
	.set _ZL26rocblas_sger_gfx942_kernelILi256E19rocblas_complex_numIfES1_PKPKS1_PKPS1_EviiT1_lT2_lllSA_lllT3_lll.has_dyn_sized_stack, 0
	.set _ZL26rocblas_sger_gfx942_kernelILi256E19rocblas_complex_numIfES1_PKPKS1_PKPS1_EviiT1_lT2_lllSA_lllT3_lll.has_recursion, 0
	.set _ZL26rocblas_sger_gfx942_kernelILi256E19rocblas_complex_numIfES1_PKPKS1_PKPS1_EviiT1_lT2_lllSA_lllT3_lll.has_indirect_call, 0
	.section	.AMDGPU.csdata,"",@progbits
; Kernel info:
; codeLenInByte = 4
; TotalNumSgprs: 4
; NumVgprs: 0
; ScratchSize: 0
; MemoryBound: 0
; FloatMode: 240
; IeeeMode: 1
; LDSByteSize: 0 bytes/workgroup (compile time only)
; SGPRBlocks: 0
; VGPRBlocks: 0
; NumSGPRsForWavesPerEU: 4
; NumVGPRsForWavesPerEU: 1
; Occupancy: 10
; WaveLimiterHint : 0
; COMPUTE_PGM_RSRC2:SCRATCH_EN: 0
; COMPUTE_PGM_RSRC2:USER_SGPR: 6
; COMPUTE_PGM_RSRC2:TRAP_HANDLER: 0
; COMPUTE_PGM_RSRC2:TGID_X_EN: 1
; COMPUTE_PGM_RSRC2:TGID_Y_EN: 0
; COMPUTE_PGM_RSRC2:TGID_Z_EN: 0
; COMPUTE_PGM_RSRC2:TIDIG_COMP_CNT: 0
	.section	.text._ZL19rocblas_sger_kernelILi1024E19rocblas_complex_numIfEPKS1_PKS3_PKPS1_EviiT1_lT2_lllSA_lllT3_lmli,"axG",@progbits,_ZL19rocblas_sger_kernelILi1024E19rocblas_complex_numIfEPKS1_PKS3_PKPS1_EviiT1_lT2_lllSA_lllT3_lmli,comdat
	.globl	_ZL19rocblas_sger_kernelILi1024E19rocblas_complex_numIfEPKS1_PKS3_PKPS1_EviiT1_lT2_lllSA_lllT3_lmli ; -- Begin function _ZL19rocblas_sger_kernelILi1024E19rocblas_complex_numIfEPKS1_PKS3_PKPS1_EviiT1_lT2_lllSA_lllT3_lmli
	.p2align	8
	.type	_ZL19rocblas_sger_kernelILi1024E19rocblas_complex_numIfEPKS1_PKS3_PKPS1_EviiT1_lT2_lllSA_lllT3_lmli,@function
_ZL19rocblas_sger_kernelILi1024E19rocblas_complex_numIfEPKS1_PKS3_PKPS1_EviiT1_lT2_lllSA_lllT3_lmli: ; @_ZL19rocblas_sger_kernelILi1024E19rocblas_complex_numIfEPKS1_PKS3_PKPS1_EviiT1_lT2_lllSA_lllT3_lmli
; %bb.0:
	s_load_dwordx4 s[0:3], s[4:5], 0x8
	s_mov_b32 s14, s7
	s_waitcnt lgkmcnt(0)
	s_mul_i32 s3, s3, s7
	s_mul_hi_u32 s7, s2, s7
	s_add_i32 s3, s7, s3
	s_mul_i32 s2, s2, s14
	s_lshl_b64 s[2:3], s[2:3], 3
	s_add_u32 s0, s0, s2
	s_addc_u32 s1, s1, s3
	s_load_dwordx2 s[12:13], s[0:1], 0x0
	s_waitcnt lgkmcnt(0)
	v_cmp_neq_f32_e64 s[0:1], s12, 0
	v_cmp_neq_f32_e64 s[2:3], s13, 0
	s_or_b64 s[0:1], s[0:1], s[2:3]
	s_andn2_b64 vcc, exec, s[0:1]
	s_cbranch_vccnz .LBB51_4
; %bb.1:
	s_load_dword s7, s[4:5], 0x0
	s_waitcnt lgkmcnt(0)
	v_cmp_gt_i32_e32 vcc, s7, v0
	s_and_saveexec_b64 s[0:1], vcc
	s_cbranch_execz .LBB51_4
; %bb.2:
	s_mov_b32 s15, 0
	s_load_dwordx2 s[16:17], s[4:5], 0x18
	s_load_dwordx4 s[0:3], s[4:5], 0x20
	s_load_dwordx2 s[18:19], s[4:5], 0x38
	s_load_dwordx4 s[8:11], s[4:5], 0x40
	s_lshl_b64 s[14:15], s[14:15], 3
	s_waitcnt lgkmcnt(0)
	s_add_u32 s20, s16, s14
	s_addc_u32 s21, s17, s15
	s_add_u32 s22, s18, s14
	s_addc_u32 s23, s19, s15
	s_load_dwordx2 s[24:25], s[22:23], 0x0
	s_load_dwordx2 s[26:27], s[4:5], 0x58
	s_load_dwordx4 s[16:19], s[4:5], 0x60
	s_lshl_b64 s[4:5], s[8:9], 3
	v_cndmask_b32_e32 v4, 0, v0, vcc
	s_waitcnt lgkmcnt(0)
	s_add_u32 s22, s24, s4
	s_addc_u32 s23, s25, s5
	s_add_u32 s4, s26, s14
	s_addc_u32 s5, s27, s15
	s_load_dwordx2 s[4:5], s[4:5], 0x0
	s_lshl_b64 s[8:9], s[16:17], 3
	s_mul_i32 s15, s19, s6
	s_mul_hi_u32 s14, s18, s6
	v_lshlrev_b32_e32 v5, 3, v4
	s_waitcnt lgkmcnt(0)
	s_add_u32 s16, s4, s8
	s_addc_u32 s17, s5, s9
	s_ashr_i32 s19, s6, 31
	s_mul_i32 s4, s18, s19
	s_add_i32 s4, s14, s4
	s_add_i32 s5, s4, s15
	s_mul_i32 s4, s18, s6
	s_lshl_b64 s[8:9], s[4:5], 3
	s_mul_hi_u32 s4, s10, s6
	s_mul_i32 s5, s10, s19
	s_add_i32 s4, s4, s5
	s_mul_i32 s5, s11, s6
	s_add_i32 s5, s4, s5
	s_mul_i32 s4, s10, s6
	s_lshl_b64 s[4:5], s[4:5], 3
	s_add_u32 s4, s22, s4
	s_addc_u32 s5, s23, s5
	v_mov_b32_e32 v1, s4
	v_mov_b32_e32 v2, s5
	flat_load_dwordx2 v[7:8], v[1:2]
	v_mad_u64_u32 v[1:2], s[4:5], s2, v0, 0
	s_load_dwordx2 s[10:11], s[20:21], 0x0
	s_lshl_b64 s[0:1], s[0:1], 3
	v_mad_u64_u32 v[2:3], s[4:5], s3, v0, v[2:3]
	v_mov_b32_e32 v6, s9
	s_waitcnt lgkmcnt(0)
	s_add_u32 s6, s10, s0
	v_lshlrev_b64 v[3:4], 3, v[1:2]
	v_mov_b32_e32 v1, s17
	v_add_co_u32_e32 v2, vcc, s16, v5
	v_addc_co_u32_e32 v5, vcc, 0, v1, vcc
	v_add_co_u32_e32 v1, vcc, s8, v2
	v_addc_co_u32_e32 v2, vcc, v5, v6, vcc
	s_addc_u32 s8, s11, s1
	v_mov_b32_e32 v5, s8
	v_add_co_u32_e32 v3, vcc, s6, v3
	s_lshl_b64 s[0:1], s[2:3], 13
	v_addc_co_u32_e32 v4, vcc, v5, v4, vcc
	s_mov_b64 s[4:5], 0
	s_waitcnt vmcnt(0)
	v_mul_f32_e32 v6, s13, v8
	v_mul_f32_e32 v5, s12, v8
	v_fma_f32 v6, s12, v7, -v6
	v_fmac_f32_e32 v5, s13, v7
	v_mov_b32_e32 v7, s1
.LBB51_3:                               ; =>This Inner Loop Header: Depth=1
	flat_load_dwordx2 v[8:9], v[3:4]
	flat_load_dwordx2 v[10:11], v[1:2]
	v_add_co_u32_e32 v3, vcc, s0, v3
	v_addc_co_u32_e32 v4, vcc, v4, v7, vcc
	v_add_u32_e32 v0, 0x400, v0
	v_cmp_le_i32_e32 vcc, s7, v0
	s_or_b64 s[4:5], vcc, s[4:5]
	s_waitcnt vmcnt(0) lgkmcnt(0)
	v_mul_f32_e32 v12, v5, v9
	v_mul_f32_e32 v9, v6, v9
	v_fma_f32 v12, v6, v8, -v12
	v_fmac_f32_e32 v9, v5, v8
	v_add_f32_e32 v8, v10, v12
	v_add_f32_e32 v9, v9, v11
	flat_store_dwordx2 v[1:2], v[8:9]
	v_add_co_u32_e32 v1, vcc, 0x2000, v1
	v_addc_co_u32_e32 v2, vcc, 0, v2, vcc
	s_andn2_b64 exec, exec, s[4:5]
	s_cbranch_execnz .LBB51_3
.LBB51_4:
	s_endpgm
	.section	.rodata,"a",@progbits
	.p2align	6, 0x0
	.amdhsa_kernel _ZL19rocblas_sger_kernelILi1024E19rocblas_complex_numIfEPKS1_PKS3_PKPS1_EviiT1_lT2_lllSA_lllT3_lmli
		.amdhsa_group_segment_fixed_size 0
		.amdhsa_private_segment_fixed_size 0
		.amdhsa_kernarg_size 124
		.amdhsa_user_sgpr_count 6
		.amdhsa_user_sgpr_private_segment_buffer 1
		.amdhsa_user_sgpr_dispatch_ptr 0
		.amdhsa_user_sgpr_queue_ptr 0
		.amdhsa_user_sgpr_kernarg_segment_ptr 1
		.amdhsa_user_sgpr_dispatch_id 0
		.amdhsa_user_sgpr_flat_scratch_init 0
		.amdhsa_user_sgpr_private_segment_size 0
		.amdhsa_uses_dynamic_stack 0
		.amdhsa_system_sgpr_private_segment_wavefront_offset 0
		.amdhsa_system_sgpr_workgroup_id_x 1
		.amdhsa_system_sgpr_workgroup_id_y 0
		.amdhsa_system_sgpr_workgroup_id_z 1
		.amdhsa_system_sgpr_workgroup_info 0
		.amdhsa_system_vgpr_workitem_id 0
		.amdhsa_next_free_vgpr 13
		.amdhsa_next_free_sgpr 28
		.amdhsa_reserve_vcc 1
		.amdhsa_reserve_flat_scratch 0
		.amdhsa_float_round_mode_32 0
		.amdhsa_float_round_mode_16_64 0
		.amdhsa_float_denorm_mode_32 3
		.amdhsa_float_denorm_mode_16_64 3
		.amdhsa_dx10_clamp 1
		.amdhsa_ieee_mode 1
		.amdhsa_fp16_overflow 0
		.amdhsa_exception_fp_ieee_invalid_op 0
		.amdhsa_exception_fp_denorm_src 0
		.amdhsa_exception_fp_ieee_div_zero 0
		.amdhsa_exception_fp_ieee_overflow 0
		.amdhsa_exception_fp_ieee_underflow 0
		.amdhsa_exception_fp_ieee_inexact 0
		.amdhsa_exception_int_div_zero 0
	.end_amdhsa_kernel
	.section	.text._ZL19rocblas_sger_kernelILi1024E19rocblas_complex_numIfEPKS1_PKS3_PKPS1_EviiT1_lT2_lllSA_lllT3_lmli,"axG",@progbits,_ZL19rocblas_sger_kernelILi1024E19rocblas_complex_numIfEPKS1_PKS3_PKPS1_EviiT1_lT2_lllSA_lllT3_lmli,comdat
.Lfunc_end51:
	.size	_ZL19rocblas_sger_kernelILi1024E19rocblas_complex_numIfEPKS1_PKS3_PKPS1_EviiT1_lT2_lllSA_lllT3_lmli, .Lfunc_end51-_ZL19rocblas_sger_kernelILi1024E19rocblas_complex_numIfEPKS1_PKS3_PKPS1_EviiT1_lT2_lllSA_lllT3_lmli
                                        ; -- End function
	.set _ZL19rocblas_sger_kernelILi1024E19rocblas_complex_numIfEPKS1_PKS3_PKPS1_EviiT1_lT2_lllSA_lllT3_lmli.num_vgpr, 13
	.set _ZL19rocblas_sger_kernelILi1024E19rocblas_complex_numIfEPKS1_PKS3_PKPS1_EviiT1_lT2_lllSA_lllT3_lmli.num_agpr, 0
	.set _ZL19rocblas_sger_kernelILi1024E19rocblas_complex_numIfEPKS1_PKS3_PKPS1_EviiT1_lT2_lllSA_lllT3_lmli.numbered_sgpr, 28
	.set _ZL19rocblas_sger_kernelILi1024E19rocblas_complex_numIfEPKS1_PKS3_PKPS1_EviiT1_lT2_lllSA_lllT3_lmli.num_named_barrier, 0
	.set _ZL19rocblas_sger_kernelILi1024E19rocblas_complex_numIfEPKS1_PKS3_PKPS1_EviiT1_lT2_lllSA_lllT3_lmli.private_seg_size, 0
	.set _ZL19rocblas_sger_kernelILi1024E19rocblas_complex_numIfEPKS1_PKS3_PKPS1_EviiT1_lT2_lllSA_lllT3_lmli.uses_vcc, 1
	.set _ZL19rocblas_sger_kernelILi1024E19rocblas_complex_numIfEPKS1_PKS3_PKPS1_EviiT1_lT2_lllSA_lllT3_lmli.uses_flat_scratch, 0
	.set _ZL19rocblas_sger_kernelILi1024E19rocblas_complex_numIfEPKS1_PKS3_PKPS1_EviiT1_lT2_lllSA_lllT3_lmli.has_dyn_sized_stack, 0
	.set _ZL19rocblas_sger_kernelILi1024E19rocblas_complex_numIfEPKS1_PKS3_PKPS1_EviiT1_lT2_lllSA_lllT3_lmli.has_recursion, 0
	.set _ZL19rocblas_sger_kernelILi1024E19rocblas_complex_numIfEPKS1_PKS3_PKPS1_EviiT1_lT2_lllSA_lllT3_lmli.has_indirect_call, 0
	.section	.AMDGPU.csdata,"",@progbits
; Kernel info:
; codeLenInByte = 556
; TotalNumSgprs: 32
; NumVgprs: 13
; ScratchSize: 0
; MemoryBound: 0
; FloatMode: 240
; IeeeMode: 1
; LDSByteSize: 0 bytes/workgroup (compile time only)
; SGPRBlocks: 3
; VGPRBlocks: 3
; NumSGPRsForWavesPerEU: 32
; NumVGPRsForWavesPerEU: 13
; Occupancy: 10
; WaveLimiterHint : 1
; COMPUTE_PGM_RSRC2:SCRATCH_EN: 0
; COMPUTE_PGM_RSRC2:USER_SGPR: 6
; COMPUTE_PGM_RSRC2:TRAP_HANDLER: 0
; COMPUTE_PGM_RSRC2:TGID_X_EN: 1
; COMPUTE_PGM_RSRC2:TGID_Y_EN: 0
; COMPUTE_PGM_RSRC2:TGID_Z_EN: 1
; COMPUTE_PGM_RSRC2:TIDIG_COMP_CNT: 0
	.section	.text._ZL19rocblas_sger_kernelILi1024E19rocblas_complex_numIfES1_PKPKS1_PKPS1_EviiT1_lT2_lllSA_lllT3_lmli,"axG",@progbits,_ZL19rocblas_sger_kernelILi1024E19rocblas_complex_numIfES1_PKPKS1_PKPS1_EviiT1_lT2_lllSA_lllT3_lmli,comdat
	.globl	_ZL19rocblas_sger_kernelILi1024E19rocblas_complex_numIfES1_PKPKS1_PKPS1_EviiT1_lT2_lllSA_lllT3_lmli ; -- Begin function _ZL19rocblas_sger_kernelILi1024E19rocblas_complex_numIfES1_PKPKS1_PKPS1_EviiT1_lT2_lllSA_lllT3_lmli
	.p2align	8
	.type	_ZL19rocblas_sger_kernelILi1024E19rocblas_complex_numIfES1_PKPKS1_PKPS1_EviiT1_lT2_lllSA_lllT3_lmli,@function
_ZL19rocblas_sger_kernelILi1024E19rocblas_complex_numIfES1_PKPKS1_PKPS1_EviiT1_lT2_lllSA_lllT3_lmli: ; @_ZL19rocblas_sger_kernelILi1024E19rocblas_complex_numIfES1_PKPKS1_PKPS1_EviiT1_lT2_lllSA_lllT3_lmli
; %bb.0:
	s_load_dwordx2 s[12:13], s[4:5], 0x8
	s_waitcnt lgkmcnt(0)
	v_cmp_neq_f32_e64 s[0:1], s12, 0
	v_cmp_neq_f32_e64 s[2:3], s13, 0
	s_or_b64 s[0:1], s[0:1], s[2:3]
	s_andn2_b64 vcc, exec, s[0:1]
	s_cbranch_vccnz .LBB52_4
; %bb.1:
	s_mov_b32 s14, s7
	s_load_dword s7, s[4:5], 0x0
	s_waitcnt lgkmcnt(0)
	v_cmp_gt_i32_e32 vcc, s7, v0
	s_and_saveexec_b64 s[0:1], vcc
	s_cbranch_execz .LBB52_4
; %bb.2:
	s_load_dwordx2 s[16:17], s[4:5], 0x18
	s_load_dwordx4 s[0:3], s[4:5], 0x20
	s_load_dwordx2 s[18:19], s[4:5], 0x38
	s_load_dwordx4 s[8:11], s[4:5], 0x40
	s_mov_b32 s15, 0
	s_lshl_b64 s[14:15], s[14:15], 3
	s_waitcnt lgkmcnt(0)
	s_add_u32 s20, s16, s14
	s_addc_u32 s21, s17, s15
	s_add_u32 s22, s18, s14
	s_addc_u32 s23, s19, s15
	s_load_dwordx2 s[24:25], s[22:23], 0x0
	s_load_dwordx2 s[26:27], s[4:5], 0x58
	s_load_dwordx4 s[16:19], s[4:5], 0x60
	s_lshl_b64 s[4:5], s[8:9], 3
	v_cndmask_b32_e32 v4, 0, v0, vcc
	s_waitcnt lgkmcnt(0)
	s_add_u32 s22, s24, s4
	s_addc_u32 s23, s25, s5
	s_add_u32 s4, s26, s14
	s_addc_u32 s5, s27, s15
	s_load_dwordx2 s[4:5], s[4:5], 0x0
	s_lshl_b64 s[8:9], s[16:17], 3
	s_mul_i32 s15, s19, s6
	s_mul_hi_u32 s14, s18, s6
	v_lshlrev_b32_e32 v5, 3, v4
	s_waitcnt lgkmcnt(0)
	s_add_u32 s16, s4, s8
	s_addc_u32 s17, s5, s9
	s_ashr_i32 s19, s6, 31
	s_mul_i32 s4, s18, s19
	s_add_i32 s4, s14, s4
	s_add_i32 s5, s4, s15
	s_mul_i32 s4, s18, s6
	s_lshl_b64 s[8:9], s[4:5], 3
	s_mul_hi_u32 s4, s10, s6
	s_mul_i32 s5, s10, s19
	s_add_i32 s4, s4, s5
	s_mul_i32 s5, s11, s6
	s_add_i32 s5, s4, s5
	s_mul_i32 s4, s10, s6
	s_lshl_b64 s[4:5], s[4:5], 3
	s_add_u32 s4, s22, s4
	s_addc_u32 s5, s23, s5
	v_mov_b32_e32 v1, s4
	v_mov_b32_e32 v2, s5
	flat_load_dwordx2 v[7:8], v[1:2]
	v_mad_u64_u32 v[1:2], s[4:5], s2, v0, 0
	s_load_dwordx2 s[10:11], s[20:21], 0x0
	s_lshl_b64 s[0:1], s[0:1], 3
	v_mad_u64_u32 v[2:3], s[4:5], s3, v0, v[2:3]
	v_mov_b32_e32 v6, s9
	s_waitcnt lgkmcnt(0)
	s_add_u32 s6, s10, s0
	v_lshlrev_b64 v[3:4], 3, v[1:2]
	v_mov_b32_e32 v1, s17
	v_add_co_u32_e32 v2, vcc, s16, v5
	v_addc_co_u32_e32 v5, vcc, 0, v1, vcc
	v_add_co_u32_e32 v1, vcc, s8, v2
	v_addc_co_u32_e32 v2, vcc, v5, v6, vcc
	s_addc_u32 s8, s11, s1
	v_mov_b32_e32 v5, s8
	v_add_co_u32_e32 v3, vcc, s6, v3
	s_lshl_b64 s[0:1], s[2:3], 13
	v_addc_co_u32_e32 v4, vcc, v5, v4, vcc
	s_mov_b64 s[4:5], 0
	s_waitcnt vmcnt(0)
	v_mul_f32_e32 v6, s13, v8
	v_mul_f32_e32 v5, s12, v8
	v_fma_f32 v6, s12, v7, -v6
	v_fmac_f32_e32 v5, s13, v7
	v_mov_b32_e32 v7, s1
.LBB52_3:                               ; =>This Inner Loop Header: Depth=1
	flat_load_dwordx2 v[8:9], v[3:4]
	flat_load_dwordx2 v[10:11], v[1:2]
	v_add_co_u32_e32 v3, vcc, s0, v3
	v_addc_co_u32_e32 v4, vcc, v4, v7, vcc
	v_add_u32_e32 v0, 0x400, v0
	v_cmp_le_i32_e32 vcc, s7, v0
	s_or_b64 s[4:5], vcc, s[4:5]
	s_waitcnt vmcnt(0) lgkmcnt(0)
	v_mul_f32_e32 v12, v5, v9
	v_mul_f32_e32 v9, v6, v9
	v_fma_f32 v12, v6, v8, -v12
	v_fmac_f32_e32 v9, v5, v8
	v_add_f32_e32 v8, v10, v12
	v_add_f32_e32 v9, v9, v11
	flat_store_dwordx2 v[1:2], v[8:9]
	v_add_co_u32_e32 v1, vcc, 0x2000, v1
	v_addc_co_u32_e32 v2, vcc, 0, v2, vcc
	s_andn2_b64 exec, exec, s[4:5]
	s_cbranch_execnz .LBB52_3
.LBB52_4:
	s_endpgm
	.section	.rodata,"a",@progbits
	.p2align	6, 0x0
	.amdhsa_kernel _ZL19rocblas_sger_kernelILi1024E19rocblas_complex_numIfES1_PKPKS1_PKPS1_EviiT1_lT2_lllSA_lllT3_lmli
		.amdhsa_group_segment_fixed_size 0
		.amdhsa_private_segment_fixed_size 0
		.amdhsa_kernarg_size 124
		.amdhsa_user_sgpr_count 6
		.amdhsa_user_sgpr_private_segment_buffer 1
		.amdhsa_user_sgpr_dispatch_ptr 0
		.amdhsa_user_sgpr_queue_ptr 0
		.amdhsa_user_sgpr_kernarg_segment_ptr 1
		.amdhsa_user_sgpr_dispatch_id 0
		.amdhsa_user_sgpr_flat_scratch_init 0
		.amdhsa_user_sgpr_private_segment_size 0
		.amdhsa_uses_dynamic_stack 0
		.amdhsa_system_sgpr_private_segment_wavefront_offset 0
		.amdhsa_system_sgpr_workgroup_id_x 1
		.amdhsa_system_sgpr_workgroup_id_y 0
		.amdhsa_system_sgpr_workgroup_id_z 1
		.amdhsa_system_sgpr_workgroup_info 0
		.amdhsa_system_vgpr_workitem_id 0
		.amdhsa_next_free_vgpr 13
		.amdhsa_next_free_sgpr 28
		.amdhsa_reserve_vcc 1
		.amdhsa_reserve_flat_scratch 0
		.amdhsa_float_round_mode_32 0
		.amdhsa_float_round_mode_16_64 0
		.amdhsa_float_denorm_mode_32 3
		.amdhsa_float_denorm_mode_16_64 3
		.amdhsa_dx10_clamp 1
		.amdhsa_ieee_mode 1
		.amdhsa_fp16_overflow 0
		.amdhsa_exception_fp_ieee_invalid_op 0
		.amdhsa_exception_fp_denorm_src 0
		.amdhsa_exception_fp_ieee_div_zero 0
		.amdhsa_exception_fp_ieee_overflow 0
		.amdhsa_exception_fp_ieee_underflow 0
		.amdhsa_exception_fp_ieee_inexact 0
		.amdhsa_exception_int_div_zero 0
	.end_amdhsa_kernel
	.section	.text._ZL19rocblas_sger_kernelILi1024E19rocblas_complex_numIfES1_PKPKS1_PKPS1_EviiT1_lT2_lllSA_lllT3_lmli,"axG",@progbits,_ZL19rocblas_sger_kernelILi1024E19rocblas_complex_numIfES1_PKPKS1_PKPS1_EviiT1_lT2_lllSA_lllT3_lmli,comdat
.Lfunc_end52:
	.size	_ZL19rocblas_sger_kernelILi1024E19rocblas_complex_numIfES1_PKPKS1_PKPS1_EviiT1_lT2_lllSA_lllT3_lmli, .Lfunc_end52-_ZL19rocblas_sger_kernelILi1024E19rocblas_complex_numIfES1_PKPKS1_PKPS1_EviiT1_lT2_lllSA_lllT3_lmli
                                        ; -- End function
	.set _ZL19rocblas_sger_kernelILi1024E19rocblas_complex_numIfES1_PKPKS1_PKPS1_EviiT1_lT2_lllSA_lllT3_lmli.num_vgpr, 13
	.set _ZL19rocblas_sger_kernelILi1024E19rocblas_complex_numIfES1_PKPKS1_PKPS1_EviiT1_lT2_lllSA_lllT3_lmli.num_agpr, 0
	.set _ZL19rocblas_sger_kernelILi1024E19rocblas_complex_numIfES1_PKPKS1_PKPS1_EviiT1_lT2_lllSA_lllT3_lmli.numbered_sgpr, 28
	.set _ZL19rocblas_sger_kernelILi1024E19rocblas_complex_numIfES1_PKPKS1_PKPS1_EviiT1_lT2_lllSA_lllT3_lmli.num_named_barrier, 0
	.set _ZL19rocblas_sger_kernelILi1024E19rocblas_complex_numIfES1_PKPKS1_PKPS1_EviiT1_lT2_lllSA_lllT3_lmli.private_seg_size, 0
	.set _ZL19rocblas_sger_kernelILi1024E19rocblas_complex_numIfES1_PKPKS1_PKPS1_EviiT1_lT2_lllSA_lllT3_lmli.uses_vcc, 1
	.set _ZL19rocblas_sger_kernelILi1024E19rocblas_complex_numIfES1_PKPKS1_PKPS1_EviiT1_lT2_lllSA_lllT3_lmli.uses_flat_scratch, 0
	.set _ZL19rocblas_sger_kernelILi1024E19rocblas_complex_numIfES1_PKPKS1_PKPS1_EviiT1_lT2_lllSA_lllT3_lmli.has_dyn_sized_stack, 0
	.set _ZL19rocblas_sger_kernelILi1024E19rocblas_complex_numIfES1_PKPKS1_PKPS1_EviiT1_lT2_lllSA_lllT3_lmli.has_recursion, 0
	.set _ZL19rocblas_sger_kernelILi1024E19rocblas_complex_numIfES1_PKPKS1_PKPS1_EviiT1_lT2_lllSA_lllT3_lmli.has_indirect_call, 0
	.section	.AMDGPU.csdata,"",@progbits
; Kernel info:
; codeLenInByte = 516
; TotalNumSgprs: 32
; NumVgprs: 13
; ScratchSize: 0
; MemoryBound: 0
; FloatMode: 240
; IeeeMode: 1
; LDSByteSize: 0 bytes/workgroup (compile time only)
; SGPRBlocks: 3
; VGPRBlocks: 3
; NumSGPRsForWavesPerEU: 32
; NumVGPRsForWavesPerEU: 13
; Occupancy: 10
; WaveLimiterHint : 1
; COMPUTE_PGM_RSRC2:SCRATCH_EN: 0
; COMPUTE_PGM_RSRC2:USER_SGPR: 6
; COMPUTE_PGM_RSRC2:TRAP_HANDLER: 0
; COMPUTE_PGM_RSRC2:TGID_X_EN: 1
; COMPUTE_PGM_RSRC2:TGID_Y_EN: 0
; COMPUTE_PGM_RSRC2:TGID_Z_EN: 1
; COMPUTE_PGM_RSRC2:TIDIG_COMP_CNT: 0
	.section	.text._ZL18rocblas_ger_kernelILi32ELi32ELi2ELb0E19rocblas_complex_numIfEPKS1_PKS3_PKPS1_EviiT4_lT5_lllSA_lllT6_lmli,"axG",@progbits,_ZL18rocblas_ger_kernelILi32ELi32ELi2ELb0E19rocblas_complex_numIfEPKS1_PKS3_PKPS1_EviiT4_lT5_lllSA_lllT6_lmli,comdat
	.globl	_ZL18rocblas_ger_kernelILi32ELi32ELi2ELb0E19rocblas_complex_numIfEPKS1_PKS3_PKPS1_EviiT4_lT5_lllSA_lllT6_lmli ; -- Begin function _ZL18rocblas_ger_kernelILi32ELi32ELi2ELb0E19rocblas_complex_numIfEPKS1_PKS3_PKPS1_EviiT4_lT5_lllSA_lllT6_lmli
	.p2align	8
	.type	_ZL18rocblas_ger_kernelILi32ELi32ELi2ELb0E19rocblas_complex_numIfEPKS1_PKS3_PKPS1_EviiT4_lT5_lllSA_lllT6_lmli,@function
_ZL18rocblas_ger_kernelILi32ELi32ELi2ELb0E19rocblas_complex_numIfEPKS1_PKS3_PKPS1_EviiT4_lT5_lllSA_lllT6_lmli: ; @_ZL18rocblas_ger_kernelILi32ELi32ELi2ELb0E19rocblas_complex_numIfEPKS1_PKS3_PKPS1_EviiT4_lT5_lllSA_lllT6_lmli
; %bb.0:
	s_load_dwordx2 s[8:9], s[4:5], 0x0
	s_load_dwordx4 s[12:15], s[4:5], 0x8
	s_mov_b32 s0, s7
	s_waitcnt lgkmcnt(0)
	s_add_i32 s1, s8, -1
	s_ashr_i32 s2, s1, 31
	s_lshr_b32 s2, s2, 27
	s_add_i32 s1, s1, s2
	s_ashr_i32 s3, s1, 5
	s_add_i32 s2, s3, 1
	v_cvt_f32_u32_e32 v2, s2
	s_mul_i32 s1, s15, s7
	s_mul_hi_u32 s7, s14, s7
	s_mul_i32 s10, s14, s0
	s_add_i32 s11, s7, s1
	s_lshl_b64 s[10:11], s[10:11], 3
	v_rcp_iflag_f32_e32 v2, v2
	s_add_u32 s12, s12, s10
	s_addc_u32 s13, s13, s11
	s_load_dwordx2 s[10:11], s[12:13], 0x0
	v_mul_f32_e32 v2, 0x4f7ffffe, v2
	v_cvt_u32_f32_e32 v2, v2
	s_waitcnt lgkmcnt(0)
	s_or_b32 s1, s10, s11
	s_bitset0_b32 s1, 31
	v_readfirstlane_b32 s7, v2
	s_cmp_eq_u32 s1, 0
	s_mov_b32 s1, 0
	s_cbranch_scc1 .LBB53_14
; %bb.1:
	s_not_b32 s3, s3
	s_mul_i32 s3, s3, s7
	s_mul_hi_u32 s3, s7, s3
	s_add_i32 s7, s7, s3
	s_mul_hi_u32 s3, s6, s7
	s_mul_i32 s7, s3, s2
	s_sub_i32 s7, s6, s7
	s_add_i32 s14, s3, 1
	s_sub_i32 s15, s7, s2
	s_cmp_ge_u32 s7, s2
	s_cselect_b32 s3, s14, s3
	s_load_dwordx2 s[12:13], s[4:5], 0x58
	s_load_dwordx2 s[18:19], s[4:5], 0x38
	s_cselect_b32 s7, s15, s7
	s_add_i32 s14, s3, 1
	s_cmp_ge_u32 s7, s2
	s_cselect_b32 s16, s14, s3
	s_mul_i32 s2, s16, s2
	s_sub_i32 s17, s6, s2
	s_lshl_b64 s[14:15], s[0:1], 3
	s_waitcnt lgkmcnt(0)
	s_add_u32 s0, s18, s14
	s_addc_u32 s1, s19, s15
	s_add_u32 s2, s12, s14
	s_addc_u32 s3, s13, s15
	s_load_dwordx2 s[0:1], s[0:1], 0x0
	v_lshl_add_u32 v2, s17, 5, v0
	s_load_dwordx2 s[6:7], s[2:3], 0x0
	v_cmp_eq_u32_e32 vcc, 0, v1
	s_and_saveexec_b64 s[2:3], vcc
	s_cbranch_execz .LBB53_5
; %bb.2:
	v_cmp_gt_i32_e32 vcc, s8, v2
	v_mov_b32_e32 v3, 0
	v_mov_b32_e32 v4, 0
	s_and_saveexec_b64 s[12:13], vcc
	s_cbranch_execz .LBB53_4
; %bb.3:
	s_load_dwordx2 s[18:19], s[4:5], 0x18
	s_load_dwordx4 s[20:23], s[4:5], 0x20
	v_ashrrev_i32_e32 v3, 31, v2
	s_waitcnt lgkmcnt(0)
	s_add_u32 s14, s18, s14
	s_addc_u32 s15, s19, s15
	v_mul_lo_u32 v5, s23, v2
	v_mul_lo_u32 v6, s22, v3
	v_mad_u64_u32 v[3:4], s[18:19], s22, v2, 0
	s_load_dwordx2 s[14:15], s[14:15], 0x0
	s_lshl_b64 s[18:19], s[20:21], 3
	v_add3_u32 v4, v4, v6, v5
	v_lshlrev_b64 v[3:4], 3, v[3:4]
	s_waitcnt lgkmcnt(0)
	s_add_u32 s14, s14, s18
	s_addc_u32 s15, s15, s19
	v_mov_b32_e32 v5, s15
	v_add_co_u32_e32 v3, vcc, s14, v3
	v_addc_co_u32_e32 v4, vcc, v5, v4, vcc
	flat_load_dwordx2 v[3:4], v[3:4]
.LBB53_4:
	s_or_b64 exec, exec, s[12:13]
	v_lshlrev_b32_e32 v5, 3, v0
	s_waitcnt vmcnt(0) lgkmcnt(0)
	ds_write_b64 v5, v[3:4] offset:512
.LBB53_5:
	s_or_b64 exec, exec, s[2:3]
	v_lshlrev_b32_e32 v5, 1, v1
	v_lshl_add_u32 v1, s16, 6, v5
	v_cmp_gt_u32_e32 vcc, 2, v0
	s_and_saveexec_b64 s[2:3], vcc
	s_cbranch_execz .LBB53_9
; %bb.6:
	v_or_b32_e32 v6, v1, v0
	v_cmp_gt_u32_e32 vcc, s9, v6
	v_mov_b32_e32 v3, 0
	v_mov_b32_e32 v4, 0
	s_and_saveexec_b64 s[12:13], vcc
	s_cbranch_execz .LBB53_8
; %bb.7:
	s_load_dwordx4 s[16:19], s[4:5], 0x40
	s_waitcnt lgkmcnt(0)
	v_mad_u64_u32 v[3:4], s[14:15], s18, v6, 0
	s_lshl_b64 s[14:15], s[16:17], 3
	s_add_u32 s0, s0, s14
	v_mad_u64_u32 v[6:7], s[16:17], s19, v6, v[4:5]
	s_addc_u32 s1, s1, s15
	v_mov_b32_e32 v7, s1
	v_mov_b32_e32 v4, v6
	v_lshlrev_b64 v[3:4], 3, v[3:4]
	v_add_co_u32_e32 v3, vcc, s0, v3
	v_addc_co_u32_e32 v4, vcc, v7, v4, vcc
	flat_load_dwordx2 v[3:4], v[3:4]
.LBB53_8:
	s_or_b64 exec, exec, s[12:13]
	v_lshlrev_b32_e32 v6, 3, v0
	v_lshl_add_u32 v6, v5, 3, v6
	s_waitcnt vmcnt(0) lgkmcnt(0)
	ds_write_b64 v6, v[3:4]
.LBB53_9:
	s_or_b64 exec, exec, s[2:3]
	v_cmp_gt_i32_e32 vcc, s8, v2
	s_waitcnt lgkmcnt(0)
	s_barrier
	s_and_saveexec_b64 s[0:1], vcc
	s_cbranch_execz .LBB53_14
; %bb.10:
	v_lshlrev_b32_e32 v0, 3, v0
	ds_read_b64 v[3:4], v0 offset:512
	s_load_dwordx4 s[0:3], s[4:5], 0x60
	v_lshlrev_b32_e32 v5, 3, v5
	s_waitcnt lgkmcnt(0)
	v_mul_f32_e32 v0, s11, v4
	v_mul_f32_e32 v4, s10, v4
	s_lshl_b64 s[0:1], s[0:1], 3
	v_fma_f32 v0, v3, s10, -v0
	v_fmac_f32_e32 v4, s11, v3
	v_ashrrev_i32_e32 v3, 31, v2
	s_add_u32 s0, s6, s0
	v_lshlrev_b64 v[2:3], 3, v[2:3]
	s_addc_u32 s1, s7, s1
	v_mov_b32_e32 v6, s1
	v_add_co_u32_e32 v2, vcc, s0, v2
	v_addc_co_u32_e32 v3, vcc, v6, v3, vcc
	v_cmp_gt_i32_e32 vcc, s9, v1
	s_and_saveexec_b64 s[0:1], vcc
	s_cbranch_execz .LBB53_12
; %bb.11:
	v_ashrrev_i32_e32 v8, 31, v1
	v_mul_lo_u32 v9, s3, v1
	v_mad_u64_u32 v[6:7], s[4:5], s2, v1, 0
	v_mul_lo_u32 v8, s2, v8
	ds_read_b64 v[10:11], v5
	v_add3_u32 v7, v7, v8, v9
	v_lshlrev_b64 v[6:7], 3, v[6:7]
	s_waitcnt lgkmcnt(0)
	v_mul_f32_e32 v12, v4, v11
	v_add_co_u32_e32 v6, vcc, v2, v6
	v_addc_co_u32_e32 v7, vcc, v3, v7, vcc
	flat_load_dwordx2 v[8:9], v[6:7]
	v_mul_f32_e32 v11, v0, v11
	v_fma_f32 v12, v0, v10, -v12
	v_fmac_f32_e32 v11, v4, v10
	s_waitcnt vmcnt(0) lgkmcnt(0)
	v_add_f32_e32 v8, v8, v12
	v_add_f32_e32 v9, v11, v9
	flat_store_dwordx2 v[6:7], v[8:9]
.LBB53_12:
	s_or_b64 exec, exec, s[0:1]
	v_or_b32_e32 v1, 1, v1
	v_cmp_gt_i32_e32 vcc, s9, v1
	s_and_b64 exec, exec, vcc
	s_cbranch_execz .LBB53_14
; %bb.13:
	v_ashrrev_i32_e32 v8, 31, v1
	v_mul_lo_u32 v9, s3, v1
	v_mad_u64_u32 v[6:7], s[0:1], s2, v1, 0
	v_mul_lo_u32 v1, s2, v8
	v_add3_u32 v7, v7, v1, v9
	v_lshlrev_b64 v[6:7], 3, v[6:7]
	ds_read_b64 v[8:9], v5 offset:8
	v_add_co_u32_e32 v1, vcc, v2, v6
	v_addc_co_u32_e32 v2, vcc, v3, v7, vcc
	flat_load_dwordx2 v[6:7], v[1:2]
	s_waitcnt lgkmcnt(0)
	v_mul_f32_e32 v3, v4, v9
	v_mul_f32_e32 v5, v0, v9
	v_fma_f32 v0, v0, v8, -v3
	v_fmac_f32_e32 v5, v4, v8
	s_waitcnt vmcnt(0)
	v_add_f32_e32 v3, v6, v0
	v_add_f32_e32 v4, v5, v7
	flat_store_dwordx2 v[1:2], v[3:4]
.LBB53_14:
	s_endpgm
	.section	.rodata,"a",@progbits
	.p2align	6, 0x0
	.amdhsa_kernel _ZL18rocblas_ger_kernelILi32ELi32ELi2ELb0E19rocblas_complex_numIfEPKS1_PKS3_PKPS1_EviiT4_lT5_lllSA_lllT6_lmli
		.amdhsa_group_segment_fixed_size 768
		.amdhsa_private_segment_fixed_size 0
		.amdhsa_kernarg_size 124
		.amdhsa_user_sgpr_count 6
		.amdhsa_user_sgpr_private_segment_buffer 1
		.amdhsa_user_sgpr_dispatch_ptr 0
		.amdhsa_user_sgpr_queue_ptr 0
		.amdhsa_user_sgpr_kernarg_segment_ptr 1
		.amdhsa_user_sgpr_dispatch_id 0
		.amdhsa_user_sgpr_flat_scratch_init 0
		.amdhsa_user_sgpr_private_segment_size 0
		.amdhsa_uses_dynamic_stack 0
		.amdhsa_system_sgpr_private_segment_wavefront_offset 0
		.amdhsa_system_sgpr_workgroup_id_x 1
		.amdhsa_system_sgpr_workgroup_id_y 0
		.amdhsa_system_sgpr_workgroup_id_z 1
		.amdhsa_system_sgpr_workgroup_info 0
		.amdhsa_system_vgpr_workitem_id 1
		.amdhsa_next_free_vgpr 13
		.amdhsa_next_free_sgpr 24
		.amdhsa_reserve_vcc 1
		.amdhsa_reserve_flat_scratch 0
		.amdhsa_float_round_mode_32 0
		.amdhsa_float_round_mode_16_64 0
		.amdhsa_float_denorm_mode_32 3
		.amdhsa_float_denorm_mode_16_64 3
		.amdhsa_dx10_clamp 1
		.amdhsa_ieee_mode 1
		.amdhsa_fp16_overflow 0
		.amdhsa_exception_fp_ieee_invalid_op 0
		.amdhsa_exception_fp_denorm_src 0
		.amdhsa_exception_fp_ieee_div_zero 0
		.amdhsa_exception_fp_ieee_overflow 0
		.amdhsa_exception_fp_ieee_underflow 0
		.amdhsa_exception_fp_ieee_inexact 0
		.amdhsa_exception_int_div_zero 0
	.end_amdhsa_kernel
	.section	.text._ZL18rocblas_ger_kernelILi32ELi32ELi2ELb0E19rocblas_complex_numIfEPKS1_PKS3_PKPS1_EviiT4_lT5_lllSA_lllT6_lmli,"axG",@progbits,_ZL18rocblas_ger_kernelILi32ELi32ELi2ELb0E19rocblas_complex_numIfEPKS1_PKS3_PKPS1_EviiT4_lT5_lllSA_lllT6_lmli,comdat
.Lfunc_end53:
	.size	_ZL18rocblas_ger_kernelILi32ELi32ELi2ELb0E19rocblas_complex_numIfEPKS1_PKS3_PKPS1_EviiT4_lT5_lllSA_lllT6_lmli, .Lfunc_end53-_ZL18rocblas_ger_kernelILi32ELi32ELi2ELb0E19rocblas_complex_numIfEPKS1_PKS3_PKPS1_EviiT4_lT5_lllSA_lllT6_lmli
                                        ; -- End function
	.set _ZL18rocblas_ger_kernelILi32ELi32ELi2ELb0E19rocblas_complex_numIfEPKS1_PKS3_PKPS1_EviiT4_lT5_lllSA_lllT6_lmli.num_vgpr, 13
	.set _ZL18rocblas_ger_kernelILi32ELi32ELi2ELb0E19rocblas_complex_numIfEPKS1_PKS3_PKPS1_EviiT4_lT5_lllSA_lllT6_lmli.num_agpr, 0
	.set _ZL18rocblas_ger_kernelILi32ELi32ELi2ELb0E19rocblas_complex_numIfEPKS1_PKS3_PKPS1_EviiT4_lT5_lllSA_lllT6_lmli.numbered_sgpr, 24
	.set _ZL18rocblas_ger_kernelILi32ELi32ELi2ELb0E19rocblas_complex_numIfEPKS1_PKS3_PKPS1_EviiT4_lT5_lllSA_lllT6_lmli.num_named_barrier, 0
	.set _ZL18rocblas_ger_kernelILi32ELi32ELi2ELb0E19rocblas_complex_numIfEPKS1_PKS3_PKPS1_EviiT4_lT5_lllSA_lllT6_lmli.private_seg_size, 0
	.set _ZL18rocblas_ger_kernelILi32ELi32ELi2ELb0E19rocblas_complex_numIfEPKS1_PKS3_PKPS1_EviiT4_lT5_lllSA_lllT6_lmli.uses_vcc, 1
	.set _ZL18rocblas_ger_kernelILi32ELi32ELi2ELb0E19rocblas_complex_numIfEPKS1_PKS3_PKPS1_EviiT4_lT5_lllSA_lllT6_lmli.uses_flat_scratch, 0
	.set _ZL18rocblas_ger_kernelILi32ELi32ELi2ELb0E19rocblas_complex_numIfEPKS1_PKS3_PKPS1_EviiT4_lT5_lllSA_lllT6_lmli.has_dyn_sized_stack, 0
	.set _ZL18rocblas_ger_kernelILi32ELi32ELi2ELb0E19rocblas_complex_numIfEPKS1_PKS3_PKPS1_EviiT4_lT5_lllSA_lllT6_lmli.has_recursion, 0
	.set _ZL18rocblas_ger_kernelILi32ELi32ELi2ELb0E19rocblas_complex_numIfEPKS1_PKS3_PKPS1_EviiT4_lT5_lllSA_lllT6_lmli.has_indirect_call, 0
	.section	.AMDGPU.csdata,"",@progbits
; Kernel info:
; codeLenInByte = 952
; TotalNumSgprs: 28
; NumVgprs: 13
; ScratchSize: 0
; MemoryBound: 0
; FloatMode: 240
; IeeeMode: 1
; LDSByteSize: 768 bytes/workgroup (compile time only)
; SGPRBlocks: 3
; VGPRBlocks: 3
; NumSGPRsForWavesPerEU: 28
; NumVGPRsForWavesPerEU: 13
; Occupancy: 10
; WaveLimiterHint : 1
; COMPUTE_PGM_RSRC2:SCRATCH_EN: 0
; COMPUTE_PGM_RSRC2:USER_SGPR: 6
; COMPUTE_PGM_RSRC2:TRAP_HANDLER: 0
; COMPUTE_PGM_RSRC2:TGID_X_EN: 1
; COMPUTE_PGM_RSRC2:TGID_Y_EN: 0
; COMPUTE_PGM_RSRC2:TGID_Z_EN: 1
; COMPUTE_PGM_RSRC2:TIDIG_COMP_CNT: 1
	.section	.text._ZL18rocblas_ger_kernelILi32ELi32ELi2ELb0E19rocblas_complex_numIfES1_PKPKS1_PKPS1_EviiT4_lT5_lllSA_lllT6_lmli,"axG",@progbits,_ZL18rocblas_ger_kernelILi32ELi32ELi2ELb0E19rocblas_complex_numIfES1_PKPKS1_PKPS1_EviiT4_lT5_lllSA_lllT6_lmli,comdat
	.globl	_ZL18rocblas_ger_kernelILi32ELi32ELi2ELb0E19rocblas_complex_numIfES1_PKPKS1_PKPS1_EviiT4_lT5_lllSA_lllT6_lmli ; -- Begin function _ZL18rocblas_ger_kernelILi32ELi32ELi2ELb0E19rocblas_complex_numIfES1_PKPKS1_PKPS1_EviiT4_lT5_lllSA_lllT6_lmli
	.p2align	8
	.type	_ZL18rocblas_ger_kernelILi32ELi32ELi2ELb0E19rocblas_complex_numIfES1_PKPKS1_PKPS1_EviiT4_lT5_lllSA_lllT6_lmli,@function
_ZL18rocblas_ger_kernelILi32ELi32ELi2ELb0E19rocblas_complex_numIfES1_PKPKS1_PKPS1_EviiT4_lT5_lllSA_lllT6_lmli: ; @_ZL18rocblas_ger_kernelILi32ELi32ELi2ELb0E19rocblas_complex_numIfES1_PKPKS1_PKPS1_EviiT4_lT5_lllSA_lllT6_lmli
; %bb.0:
	s_load_dwordx4 s[0:3], s[4:5], 0x0
	s_mov_b32 s8, s7
	s_waitcnt lgkmcnt(0)
	s_add_i32 s7, s0, -1
	s_ashr_i32 s9, s7, 31
	s_lshr_b32 s9, s9, 27
	s_add_i32 s7, s7, s9
	s_ashr_i32 s10, s7, 5
	s_add_i32 s7, s10, 1
	v_cvt_f32_u32_e32 v2, s7
	s_or_b32 s9, s2, s3
	s_bitset0_b32 s9, 31
	s_cmp_eq_u32 s9, 0
	v_rcp_iflag_f32_e32 v2, v2
	s_mov_b32 s9, 0
	v_mul_f32_e32 v2, 0x4f7ffffe, v2
	v_cvt_u32_f32_e32 v2, v2
	v_readfirstlane_b32 s11, v2
	s_cbranch_scc1 .LBB54_14
; %bb.1:
	s_not_b32 s10, s10
	s_mul_i32 s10, s10, s11
	s_mul_hi_u32 s10, s11, s10
	s_add_i32 s11, s11, s10
	s_mul_hi_u32 s10, s6, s11
	s_mul_i32 s11, s10, s7
	s_sub_i32 s11, s6, s11
	s_add_i32 s14, s10, 1
	s_sub_i32 s15, s11, s7
	s_cmp_ge_u32 s11, s7
	s_cselect_b32 s10, s14, s10
	s_load_dwordx2 s[12:13], s[4:5], 0x58
	s_load_dwordx2 s[18:19], s[4:5], 0x38
	s_cselect_b32 s11, s15, s11
	s_add_i32 s14, s10, 1
	s_cmp_ge_u32 s11, s7
	s_cselect_b32 s16, s14, s10
	s_mul_i32 s7, s16, s7
	s_sub_i32 s10, s6, s7
	s_lshl_b64 s[14:15], s[8:9], 3
	s_waitcnt lgkmcnt(0)
	s_add_u32 s6, s18, s14
	s_addc_u32 s7, s19, s15
	s_add_u32 s8, s12, s14
	s_addc_u32 s9, s13, s15
	s_load_dwordx2 s[6:7], s[6:7], 0x0
	v_lshl_add_u32 v2, s10, 5, v0
	s_load_dwordx2 s[8:9], s[8:9], 0x0
	v_cmp_eq_u32_e32 vcc, 0, v1
	s_and_saveexec_b64 s[10:11], vcc
	s_cbranch_execz .LBB54_5
; %bb.2:
	v_cmp_gt_i32_e32 vcc, s0, v2
	v_mov_b32_e32 v3, 0
	v_mov_b32_e32 v4, 0
	s_and_saveexec_b64 s[12:13], vcc
	s_cbranch_execz .LBB54_4
; %bb.3:
	s_load_dwordx2 s[18:19], s[4:5], 0x18
	s_load_dwordx4 s[20:23], s[4:5], 0x20
	v_ashrrev_i32_e32 v3, 31, v2
	s_waitcnt lgkmcnt(0)
	s_add_u32 s14, s18, s14
	s_addc_u32 s15, s19, s15
	v_mul_lo_u32 v5, s23, v2
	v_mul_lo_u32 v6, s22, v3
	v_mad_u64_u32 v[3:4], s[18:19], s22, v2, 0
	s_load_dwordx2 s[14:15], s[14:15], 0x0
	s_lshl_b64 s[18:19], s[20:21], 3
	v_add3_u32 v4, v4, v6, v5
	v_lshlrev_b64 v[3:4], 3, v[3:4]
	s_waitcnt lgkmcnt(0)
	s_add_u32 s14, s14, s18
	s_addc_u32 s15, s15, s19
	v_mov_b32_e32 v5, s15
	v_add_co_u32_e32 v3, vcc, s14, v3
	v_addc_co_u32_e32 v4, vcc, v5, v4, vcc
	flat_load_dwordx2 v[3:4], v[3:4]
.LBB54_4:
	s_or_b64 exec, exec, s[12:13]
	v_lshlrev_b32_e32 v5, 3, v0
	s_waitcnt vmcnt(0) lgkmcnt(0)
	ds_write_b64 v5, v[3:4] offset:512
.LBB54_5:
	s_or_b64 exec, exec, s[10:11]
	v_lshlrev_b32_e32 v5, 1, v1
	v_lshl_add_u32 v1, s16, 6, v5
	v_cmp_gt_u32_e32 vcc, 2, v0
	s_and_saveexec_b64 s[10:11], vcc
	s_cbranch_execz .LBB54_9
; %bb.6:
	v_or_b32_e32 v6, v1, v0
	v_cmp_gt_u32_e32 vcc, s1, v6
	v_mov_b32_e32 v3, 0
	v_mov_b32_e32 v4, 0
	s_and_saveexec_b64 s[12:13], vcc
	s_cbranch_execz .LBB54_8
; %bb.7:
	s_load_dwordx4 s[16:19], s[4:5], 0x40
	s_waitcnt lgkmcnt(0)
	v_mad_u64_u32 v[3:4], s[14:15], s18, v6, 0
	s_lshl_b64 s[14:15], s[16:17], 3
	s_add_u32 s6, s6, s14
	v_mad_u64_u32 v[6:7], s[16:17], s19, v6, v[4:5]
	s_addc_u32 s7, s7, s15
	v_mov_b32_e32 v7, s7
	v_mov_b32_e32 v4, v6
	v_lshlrev_b64 v[3:4], 3, v[3:4]
	v_add_co_u32_e32 v3, vcc, s6, v3
	v_addc_co_u32_e32 v4, vcc, v7, v4, vcc
	flat_load_dwordx2 v[3:4], v[3:4]
.LBB54_8:
	s_or_b64 exec, exec, s[12:13]
	v_lshlrev_b32_e32 v6, 3, v0
	v_lshl_add_u32 v6, v5, 3, v6
	s_waitcnt vmcnt(0) lgkmcnt(0)
	ds_write_b64 v6, v[3:4]
.LBB54_9:
	s_or_b64 exec, exec, s[10:11]
	v_cmp_gt_i32_e32 vcc, s0, v2
	s_waitcnt lgkmcnt(0)
	s_barrier
	s_and_saveexec_b64 s[6:7], vcc
	s_cbranch_execz .LBB54_14
; %bb.10:
	v_lshlrev_b32_e32 v0, 3, v0
	ds_read_b64 v[3:4], v0 offset:512
	s_load_dwordx4 s[4:7], s[4:5], 0x60
	v_lshlrev_b32_e32 v5, 3, v5
	s_waitcnt lgkmcnt(0)
	v_mul_f32_e32 v0, s3, v4
	v_mul_f32_e32 v4, s2, v4
	s_lshl_b64 s[4:5], s[4:5], 3
	v_fma_f32 v0, v3, s2, -v0
	v_fmac_f32_e32 v4, s3, v3
	v_ashrrev_i32_e32 v3, 31, v2
	s_add_u32 s0, s8, s4
	v_lshlrev_b64 v[2:3], 3, v[2:3]
	s_addc_u32 s4, s9, s5
	v_mov_b32_e32 v6, s4
	v_add_co_u32_e32 v2, vcc, s0, v2
	v_addc_co_u32_e32 v3, vcc, v6, v3, vcc
	v_cmp_gt_i32_e32 vcc, s1, v1
	s_and_saveexec_b64 s[2:3], vcc
	s_cbranch_execz .LBB54_12
; %bb.11:
	v_ashrrev_i32_e32 v8, 31, v1
	v_mul_lo_u32 v9, s7, v1
	v_mad_u64_u32 v[6:7], s[4:5], s6, v1, 0
	v_mul_lo_u32 v8, s6, v8
	ds_read_b64 v[10:11], v5
	v_add3_u32 v7, v7, v8, v9
	v_lshlrev_b64 v[6:7], 3, v[6:7]
	s_waitcnt lgkmcnt(0)
	v_mul_f32_e32 v12, v4, v11
	v_add_co_u32_e32 v6, vcc, v2, v6
	v_addc_co_u32_e32 v7, vcc, v3, v7, vcc
	flat_load_dwordx2 v[8:9], v[6:7]
	v_mul_f32_e32 v11, v0, v11
	v_fma_f32 v12, v0, v10, -v12
	v_fmac_f32_e32 v11, v4, v10
	s_waitcnt vmcnt(0) lgkmcnt(0)
	v_add_f32_e32 v8, v8, v12
	v_add_f32_e32 v9, v11, v9
	flat_store_dwordx2 v[6:7], v[8:9]
.LBB54_12:
	s_or_b64 exec, exec, s[2:3]
	v_or_b32_e32 v1, 1, v1
	v_cmp_gt_i32_e32 vcc, s1, v1
	s_and_b64 exec, exec, vcc
	s_cbranch_execz .LBB54_14
; %bb.13:
	v_ashrrev_i32_e32 v8, 31, v1
	v_mul_lo_u32 v9, s7, v1
	v_mad_u64_u32 v[6:7], s[0:1], s6, v1, 0
	v_mul_lo_u32 v1, s6, v8
	v_add3_u32 v7, v7, v1, v9
	v_lshlrev_b64 v[6:7], 3, v[6:7]
	ds_read_b64 v[8:9], v5 offset:8
	v_add_co_u32_e32 v1, vcc, v2, v6
	v_addc_co_u32_e32 v2, vcc, v3, v7, vcc
	flat_load_dwordx2 v[6:7], v[1:2]
	s_waitcnt lgkmcnt(0)
	v_mul_f32_e32 v3, v4, v9
	v_mul_f32_e32 v5, v0, v9
	v_fma_f32 v0, v0, v8, -v3
	v_fmac_f32_e32 v5, v4, v8
	s_waitcnt vmcnt(0)
	v_add_f32_e32 v3, v6, v0
	v_add_f32_e32 v4, v5, v7
	flat_store_dwordx2 v[1:2], v[3:4]
.LBB54_14:
	s_endpgm
	.section	.rodata,"a",@progbits
	.p2align	6, 0x0
	.amdhsa_kernel _ZL18rocblas_ger_kernelILi32ELi32ELi2ELb0E19rocblas_complex_numIfES1_PKPKS1_PKPS1_EviiT4_lT5_lllSA_lllT6_lmli
		.amdhsa_group_segment_fixed_size 768
		.amdhsa_private_segment_fixed_size 0
		.amdhsa_kernarg_size 124
		.amdhsa_user_sgpr_count 6
		.amdhsa_user_sgpr_private_segment_buffer 1
		.amdhsa_user_sgpr_dispatch_ptr 0
		.amdhsa_user_sgpr_queue_ptr 0
		.amdhsa_user_sgpr_kernarg_segment_ptr 1
		.amdhsa_user_sgpr_dispatch_id 0
		.amdhsa_user_sgpr_flat_scratch_init 0
		.amdhsa_user_sgpr_private_segment_size 0
		.amdhsa_uses_dynamic_stack 0
		.amdhsa_system_sgpr_private_segment_wavefront_offset 0
		.amdhsa_system_sgpr_workgroup_id_x 1
		.amdhsa_system_sgpr_workgroup_id_y 0
		.amdhsa_system_sgpr_workgroup_id_z 1
		.amdhsa_system_sgpr_workgroup_info 0
		.amdhsa_system_vgpr_workitem_id 1
		.amdhsa_next_free_vgpr 13
		.amdhsa_next_free_sgpr 24
		.amdhsa_reserve_vcc 1
		.amdhsa_reserve_flat_scratch 0
		.amdhsa_float_round_mode_32 0
		.amdhsa_float_round_mode_16_64 0
		.amdhsa_float_denorm_mode_32 3
		.amdhsa_float_denorm_mode_16_64 3
		.amdhsa_dx10_clamp 1
		.amdhsa_ieee_mode 1
		.amdhsa_fp16_overflow 0
		.amdhsa_exception_fp_ieee_invalid_op 0
		.amdhsa_exception_fp_denorm_src 0
		.amdhsa_exception_fp_ieee_div_zero 0
		.amdhsa_exception_fp_ieee_overflow 0
		.amdhsa_exception_fp_ieee_underflow 0
		.amdhsa_exception_fp_ieee_inexact 0
		.amdhsa_exception_int_div_zero 0
	.end_amdhsa_kernel
	.section	.text._ZL18rocblas_ger_kernelILi32ELi32ELi2ELb0E19rocblas_complex_numIfES1_PKPKS1_PKPS1_EviiT4_lT5_lllSA_lllT6_lmli,"axG",@progbits,_ZL18rocblas_ger_kernelILi32ELi32ELi2ELb0E19rocblas_complex_numIfES1_PKPKS1_PKPS1_EviiT4_lT5_lllSA_lllT6_lmli,comdat
.Lfunc_end54:
	.size	_ZL18rocblas_ger_kernelILi32ELi32ELi2ELb0E19rocblas_complex_numIfES1_PKPKS1_PKPS1_EviiT4_lT5_lllSA_lllT6_lmli, .Lfunc_end54-_ZL18rocblas_ger_kernelILi32ELi32ELi2ELb0E19rocblas_complex_numIfES1_PKPKS1_PKPS1_EviiT4_lT5_lllSA_lllT6_lmli
                                        ; -- End function
	.set _ZL18rocblas_ger_kernelILi32ELi32ELi2ELb0E19rocblas_complex_numIfES1_PKPKS1_PKPS1_EviiT4_lT5_lllSA_lllT6_lmli.num_vgpr, 13
	.set _ZL18rocblas_ger_kernelILi32ELi32ELi2ELb0E19rocblas_complex_numIfES1_PKPKS1_PKPS1_EviiT4_lT5_lllSA_lllT6_lmli.num_agpr, 0
	.set _ZL18rocblas_ger_kernelILi32ELi32ELi2ELb0E19rocblas_complex_numIfES1_PKPKS1_PKPS1_EviiT4_lT5_lllSA_lllT6_lmli.numbered_sgpr, 24
	.set _ZL18rocblas_ger_kernelILi32ELi32ELi2ELb0E19rocblas_complex_numIfES1_PKPKS1_PKPS1_EviiT4_lT5_lllSA_lllT6_lmli.num_named_barrier, 0
	.set _ZL18rocblas_ger_kernelILi32ELi32ELi2ELb0E19rocblas_complex_numIfES1_PKPKS1_PKPS1_EviiT4_lT5_lllSA_lllT6_lmli.private_seg_size, 0
	.set _ZL18rocblas_ger_kernelILi32ELi32ELi2ELb0E19rocblas_complex_numIfES1_PKPKS1_PKPS1_EviiT4_lT5_lllSA_lllT6_lmli.uses_vcc, 1
	.set _ZL18rocblas_ger_kernelILi32ELi32ELi2ELb0E19rocblas_complex_numIfES1_PKPKS1_PKPS1_EviiT4_lT5_lllSA_lllT6_lmli.uses_flat_scratch, 0
	.set _ZL18rocblas_ger_kernelILi32ELi32ELi2ELb0E19rocblas_complex_numIfES1_PKPKS1_PKPS1_EviiT4_lT5_lllSA_lllT6_lmli.has_dyn_sized_stack, 0
	.set _ZL18rocblas_ger_kernelILi32ELi32ELi2ELb0E19rocblas_complex_numIfES1_PKPKS1_PKPS1_EviiT4_lT5_lllSA_lllT6_lmli.has_recursion, 0
	.set _ZL18rocblas_ger_kernelILi32ELi32ELi2ELb0E19rocblas_complex_numIfES1_PKPKS1_PKPS1_EviiT4_lT5_lllSA_lllT6_lmli.has_indirect_call, 0
	.section	.AMDGPU.csdata,"",@progbits
; Kernel info:
; codeLenInByte = 904
; TotalNumSgprs: 28
; NumVgprs: 13
; ScratchSize: 0
; MemoryBound: 0
; FloatMode: 240
; IeeeMode: 1
; LDSByteSize: 768 bytes/workgroup (compile time only)
; SGPRBlocks: 3
; VGPRBlocks: 3
; NumSGPRsForWavesPerEU: 28
; NumVGPRsForWavesPerEU: 13
; Occupancy: 10
; WaveLimiterHint : 1
; COMPUTE_PGM_RSRC2:SCRATCH_EN: 0
; COMPUTE_PGM_RSRC2:USER_SGPR: 6
; COMPUTE_PGM_RSRC2:TRAP_HANDLER: 0
; COMPUTE_PGM_RSRC2:TGID_X_EN: 1
; COMPUTE_PGM_RSRC2:TGID_Y_EN: 0
; COMPUTE_PGM_RSRC2:TGID_Z_EN: 1
; COMPUTE_PGM_RSRC2:TIDIG_COMP_CNT: 1
	.section	.text._ZL34rocblas_ger_double_buffered_kernelILb0ELi64ELi16ELi2E19rocblas_complex_numIdE24rocblas_internal_val_ptrIS1_EPKPKS1_PKPS1_EvbiiT4_lT5_lllSC_lllT6_lmli,"axG",@progbits,_ZL34rocblas_ger_double_buffered_kernelILb0ELi64ELi16ELi2E19rocblas_complex_numIdE24rocblas_internal_val_ptrIS1_EPKPKS1_PKPS1_EvbiiT4_lT5_lllSC_lllT6_lmli,comdat
	.globl	_ZL34rocblas_ger_double_buffered_kernelILb0ELi64ELi16ELi2E19rocblas_complex_numIdE24rocblas_internal_val_ptrIS1_EPKPKS1_PKPS1_EvbiiT4_lT5_lllSC_lllT6_lmli ; -- Begin function _ZL34rocblas_ger_double_buffered_kernelILb0ELi64ELi16ELi2E19rocblas_complex_numIdE24rocblas_internal_val_ptrIS1_EPKPKS1_PKPS1_EvbiiT4_lT5_lllSC_lllT6_lmli
	.p2align	8
	.type	_ZL34rocblas_ger_double_buffered_kernelILb0ELi64ELi16ELi2E19rocblas_complex_numIdE24rocblas_internal_val_ptrIS1_EPKPKS1_PKPS1_EvbiiT4_lT5_lllSC_lllT6_lmli,@function
_ZL34rocblas_ger_double_buffered_kernelILb0ELi64ELi16ELi2E19rocblas_complex_numIdE24rocblas_internal_val_ptrIS1_EPKPKS1_PKPS1_EvbiiT4_lT5_lllSC_lllT6_lmli: ; @_ZL34rocblas_ger_double_buffered_kernelILb0ELi64ELi16ELi2E19rocblas_complex_numIdE24rocblas_internal_val_ptrIS1_EPKPKS1_PKPS1_EvbiiT4_lT5_lllSC_lllT6_lmli
; %bb.0:
	s_load_dword s0, s[4:5], 0x0
	s_load_dwordx2 s[10:11], s[4:5], 0x10
	s_mov_b32 s9, 0
	s_waitcnt lgkmcnt(0)
	s_bitcmp0_b32 s0, 0
	s_cbranch_scc0 .LBB55_2
; %bb.1:
	s_load_dwordx2 s[0:1], s[4:5], 0x20
	s_waitcnt lgkmcnt(0)
	s_mul_i32 s1, s1, s8
	s_mul_hi_u32 s2, s0, s8
	s_add_i32 s1, s2, s1
	s_mul_i32 s0, s0, s8
	s_lshl_b64 s[0:1], s[0:1], 4
	s_add_u32 s12, s10, s0
	s_addc_u32 s13, s11, s1
	s_load_dwordx4 s[0:3], s[12:13], 0x0
	s_cbranch_execz .LBB55_3
	s_branch .LBB55_4
.LBB55_2:
                                        ; implicit-def: $sgpr2_sgpr3
.LBB55_3:
	s_waitcnt lgkmcnt(0)
	s_load_dwordx2 s[2:3], s[4:5], 0x18
	s_mov_b64 s[0:1], s[10:11]
.LBB55_4:
	s_waitcnt lgkmcnt(0)
	v_cmp_neq_f64_e64 s[10:11], s[0:1], 0
	v_cmp_neq_f64_e64 s[12:13], s[2:3], 0
	s_or_b64 s[10:11], s[10:11], s[12:13]
	s_andn2_b64 vcc, exec, s[10:11]
	s_cbranch_vccnz .LBB55_6
; %bb.5:
	s_load_dwordx2 s[10:11], s[4:5], 0x68
	s_load_dwordx4 s[12:15], s[4:5], 0x70
	s_lshl_b64 s[20:21], s[8:9], 3
	v_and_b32_e32 v4, 31, v0
	v_lshl_add_u32 v3, v1, 6, v0
	s_waitcnt lgkmcnt(0)
	s_add_u32 s16, s10, s20
	s_addc_u32 s17, s11, s21
	s_load_dwordx2 s[18:19], s[16:17], 0x0
	s_load_dwordx2 s[22:23], s[4:5], 0x48
	s_load_dwordx4 s[8:11], s[4:5], 0x50
	s_lshl_b64 s[12:13], s[12:13], 4
	v_lshrrev_b32_e32 v6, 4, v3
	s_waitcnt lgkmcnt(0)
	s_add_u32 s26, s18, s12
	s_addc_u32 s27, s19, s13
	s_add_u32 s12, s22, s20
	s_addc_u32 s13, s23, s21
	s_load_dwordx2 s[22:23], s[12:13], 0x0
	s_load_dwordx2 s[24:25], s[4:5], 0x28
	s_load_dwordx4 s[16:19], s[4:5], 0x30
	s_lshl_b64 s[4:5], s[8:9], 4
	v_or_b32_e32 v3, 32, v4
	s_waitcnt lgkmcnt(0)
	s_add_u32 s12, s22, s4
	s_addc_u32 s13, s23, s5
	s_add_u32 s4, s24, s20
	s_addc_u32 s5, s25, s21
	s_load_dwordx2 s[4:5], s[4:5], 0x0
	s_lshl_b64 s[8:9], s[16:17], 4
	v_and_b32_e32 v5, 0x1ffe, v6
	v_or_b32_e32 v17, 1, v6
	v_lshlrev_b32_e32 v25, 4, v4
	s_waitcnt lgkmcnt(0)
	s_add_u32 s16, s4, s8
	s_addc_u32 s17, s5, s9
	s_lshl_b32 s4, s6, 6
	s_ashr_i32 s5, s4, 31
	s_lshl_b64 s[8:9], s[4:5], 4
	s_add_u32 s8, s26, s8
	s_addc_u32 s9, s27, s9
	s_lshl_b32 s20, s7, 6
	s_ashr_i32 s21, s20, 31
	s_mul_hi_u32 s7, s14, s20
	s_mul_i32 s23, s14, s21
	s_mul_i32 s22, s15, s20
	s_add_i32 s7, s7, s23
	s_mul_i32 s6, s14, s20
	s_add_i32 s7, s7, s22
	s_lshl_b64 s[6:7], s[6:7], 4
	s_add_u32 s8, s8, s6
	s_mul_i32 s5, s18, s5
	s_mul_hi_u32 s6, s18, s4
	s_addc_u32 s9, s9, s7
	s_add_i32 s5, s6, s5
	s_mul_i32 s6, s19, s4
	s_add_i32 s5, s5, s6
	s_mul_i32 s4, s18, s4
	s_lshl_b64 s[4:5], s[4:5], 4
	s_add_u32 s16, s16, s4
	s_addc_u32 s17, s17, s5
	v_mad_u64_u32 v[0:1], s[4:5], s18, v4, 0
	s_mul_i32 s6, s10, s21
	s_mul_hi_u32 s4, s10, s20
	s_add_i32 s6, s4, s6
	v_mad_u64_u32 v[1:2], s[4:5], s19, v4, v[1:2]
	v_mad_u64_u32 v[7:8], s[4:5], s18, v3, 0
	v_lshlrev_b64 v[0:1], 4, v[0:1]
	v_mov_b32_e32 v2, s17
	v_add_co_u32_e32 v0, vcc, s16, v0
	v_addc_co_u32_e32 v1, vcc, v2, v1, vcc
	v_mov_b32_e32 v2, v8
	v_mad_u64_u32 v[8:9], s[4:5], s19, v3, v[2:3]
	v_mov_b32_e32 v9, s17
	flat_load_dwordx4 v[0:3], v[0:1]
	v_lshlrev_b64 v[7:8], 4, v[7:8]
	v_mad_u64_u32 v[11:12], s[4:5], s10, v5, 0
	v_add_co_u32_e32 v7, vcc, s16, v7
	v_addc_co_u32_e32 v8, vcc, v9, v8, vcc
	flat_load_dwordx4 v[7:10], v[7:8]
	s_mul_i32 s7, s11, s20
	s_add_i32 s7, s6, s7
	s_mul_i32 s6, s10, s20
	v_mad_u64_u32 v[12:13], s[16:17], s11, v5, v[12:13]
	s_lshl_b64 s[4:5], s[14:15], 4
	s_lshl_b64 s[6:7], s[6:7], 4
	s_add_u32 s12, s12, s6
	s_addc_u32 s13, s13, s7
	v_mad_u64_u32 v[15:16], s[6:7], s10, v17, 0
	v_lshlrev_b64 v[11:12], 4, v[11:12]
	v_mov_b32_e32 v13, s13
	v_add_co_u32_e32 v11, vcc, s12, v11
	v_addc_co_u32_e32 v12, vcc, v13, v12, vcc
	v_mov_b32_e32 v6, v16
	flat_load_dwordx4 v[11:14], v[11:12]
	v_mad_u64_u32 v[19:20], s[6:7], s14, v5, 0
	v_mov_b32_e32 v26, s9
	s_waitcnt vmcnt(0) lgkmcnt(0)
	v_mad_u64_u32 v[16:17], s[6:7], s11, v17, v[6:7]
	v_mov_b32_e32 v6, s13
	v_mul_f64 v[21:22], s[0:1], v[9:10]
	v_lshlrev_b64 v[15:16], 4, v[15:16]
	v_mul_f64 v[9:10], s[2:3], v[9:10]
	v_add_co_u32_e32 v15, vcc, s12, v15
	v_addc_co_u32_e32 v16, vcc, v6, v16, vcc
	flat_load_dwordx4 v[15:18], v[15:16]
	v_mov_b32_e32 v6, v20
	v_mad_u64_u32 v[5:6], s[6:7], s15, v5, v[6:7]
	v_fma_f64 v[21:22], s[2:3], v[7:8], v[21:22]
	v_mov_b32_e32 v20, v5
	v_mul_f64 v[5:6], s[0:1], v[2:3]
	v_mul_f64 v[2:3], s[2:3], v[2:3]
	v_lshlrev_b64 v[19:20], 4, v[19:20]
	v_fma_f64 v[4:5], s[2:3], v[0:1], v[5:6]
	v_fma_f64 v[6:7], s[0:1], v[7:8], -v[9:10]
	v_mul_f64 v[8:9], v[21:22], v[13:14]
	v_fma_f64 v[23:24], s[0:1], v[0:1], -v[2:3]
	v_add_co_u32_e32 v10, vcc, s8, v19
	v_addc_co_u32_e32 v20, vcc, v26, v20, vcc
	v_mul_f64 v[0:1], v[4:5], v[13:14]
	v_add_co_u32_e32 v19, vcc, v10, v25
	v_fma_f64 v[29:30], v[6:7], v[11:12], -v[8:9]
	v_mul_f64 v[2:3], v[23:24], v[13:14]
	v_mul_f64 v[13:14], v[6:7], v[13:14]
	v_addc_co_u32_e32 v20, vcc, 0, v20, vcc
	v_fma_f64 v[25:26], v[23:24], v[11:12], -v[0:1]
	v_fma_f64 v[27:28], v[4:5], v[11:12], v[2:3]
	v_fma_f64 v[31:32], v[21:22], v[11:12], v[13:14]
	flat_load_dwordx4 v[0:3], v[19:20]
	s_waitcnt vmcnt(0) lgkmcnt(0)
	v_mul_f64 v[8:9], v[4:5], v[17:18]
	v_fma_f64 v[33:34], v[23:24], v[15:16], -v[8:9]
	v_mul_f64 v[8:9], v[23:24], v[17:18]
	v_fma_f64 v[23:24], v[4:5], v[15:16], v[8:9]
	v_mul_f64 v[4:5], v[21:22], v[17:18]
	v_mov_b32_e32 v8, s5
	v_fma_f64 v[35:36], v[6:7], v[15:16], -v[4:5]
	v_mul_f64 v[4:5], v[6:7], v[17:18]
	v_fma_f64 v[16:17], v[21:22], v[15:16], v[4:5]
	v_add_co_u32_e32 v21, vcc, s4, v19
	v_addc_co_u32_e32 v22, vcc, v20, v8, vcc
	flat_load_dwordx4 v[4:7], v[19:20] offset:512
	flat_load_dwordx4 v[8:11], v[21:22]
	flat_load_dwordx4 v[12:15], v[21:22] offset:512
	v_add_f64 v[0:1], v[0:1], v[25:26]
	v_add_f64 v[2:3], v[27:28], v[2:3]
	s_waitcnt vmcnt(0) lgkmcnt(0)
	v_add_f64 v[4:5], v[4:5], v[29:30]
	v_add_f64 v[8:9], v[8:9], v[33:34]
	;; [unrolled: 1-line block ×6, first 2 shown]
	flat_store_dwordx4 v[19:20], v[0:3]
	flat_store_dwordx4 v[21:22], v[8:11]
	flat_store_dwordx4 v[19:20], v[4:7] offset:512
	flat_store_dwordx4 v[21:22], v[12:15] offset:512
.LBB55_6:
	s_endpgm
	.section	.rodata,"a",@progbits
	.p2align	6, 0x0
	.amdhsa_kernel _ZL34rocblas_ger_double_buffered_kernelILb0ELi64ELi16ELi2E19rocblas_complex_numIdE24rocblas_internal_val_ptrIS1_EPKPKS1_PKPS1_EvbiiT4_lT5_lllSC_lllT6_lmli
		.amdhsa_group_segment_fixed_size 0
		.amdhsa_private_segment_fixed_size 0
		.amdhsa_kernarg_size 140
		.amdhsa_user_sgpr_count 6
		.amdhsa_user_sgpr_private_segment_buffer 1
		.amdhsa_user_sgpr_dispatch_ptr 0
		.amdhsa_user_sgpr_queue_ptr 0
		.amdhsa_user_sgpr_kernarg_segment_ptr 1
		.amdhsa_user_sgpr_dispatch_id 0
		.amdhsa_user_sgpr_flat_scratch_init 0
		.amdhsa_user_sgpr_private_segment_size 0
		.amdhsa_uses_dynamic_stack 0
		.amdhsa_system_sgpr_private_segment_wavefront_offset 0
		.amdhsa_system_sgpr_workgroup_id_x 1
		.amdhsa_system_sgpr_workgroup_id_y 1
		.amdhsa_system_sgpr_workgroup_id_z 1
		.amdhsa_system_sgpr_workgroup_info 0
		.amdhsa_system_vgpr_workitem_id 1
		.amdhsa_next_free_vgpr 37
		.amdhsa_next_free_sgpr 28
		.amdhsa_reserve_vcc 1
		.amdhsa_reserve_flat_scratch 0
		.amdhsa_float_round_mode_32 0
		.amdhsa_float_round_mode_16_64 0
		.amdhsa_float_denorm_mode_32 3
		.amdhsa_float_denorm_mode_16_64 3
		.amdhsa_dx10_clamp 1
		.amdhsa_ieee_mode 1
		.amdhsa_fp16_overflow 0
		.amdhsa_exception_fp_ieee_invalid_op 0
		.amdhsa_exception_fp_denorm_src 0
		.amdhsa_exception_fp_ieee_div_zero 0
		.amdhsa_exception_fp_ieee_overflow 0
		.amdhsa_exception_fp_ieee_underflow 0
		.amdhsa_exception_fp_ieee_inexact 0
		.amdhsa_exception_int_div_zero 0
	.end_amdhsa_kernel
	.section	.text._ZL34rocblas_ger_double_buffered_kernelILb0ELi64ELi16ELi2E19rocblas_complex_numIdE24rocblas_internal_val_ptrIS1_EPKPKS1_PKPS1_EvbiiT4_lT5_lllSC_lllT6_lmli,"axG",@progbits,_ZL34rocblas_ger_double_buffered_kernelILb0ELi64ELi16ELi2E19rocblas_complex_numIdE24rocblas_internal_val_ptrIS1_EPKPKS1_PKPS1_EvbiiT4_lT5_lllSC_lllT6_lmli,comdat
.Lfunc_end55:
	.size	_ZL34rocblas_ger_double_buffered_kernelILb0ELi64ELi16ELi2E19rocblas_complex_numIdE24rocblas_internal_val_ptrIS1_EPKPKS1_PKPS1_EvbiiT4_lT5_lllSC_lllT6_lmli, .Lfunc_end55-_ZL34rocblas_ger_double_buffered_kernelILb0ELi64ELi16ELi2E19rocblas_complex_numIdE24rocblas_internal_val_ptrIS1_EPKPKS1_PKPS1_EvbiiT4_lT5_lllSC_lllT6_lmli
                                        ; -- End function
	.set _ZL34rocblas_ger_double_buffered_kernelILb0ELi64ELi16ELi2E19rocblas_complex_numIdE24rocblas_internal_val_ptrIS1_EPKPKS1_PKPS1_EvbiiT4_lT5_lllSC_lllT6_lmli.num_vgpr, 37
	.set _ZL34rocblas_ger_double_buffered_kernelILb0ELi64ELi16ELi2E19rocblas_complex_numIdE24rocblas_internal_val_ptrIS1_EPKPKS1_PKPS1_EvbiiT4_lT5_lllSC_lllT6_lmli.num_agpr, 0
	.set _ZL34rocblas_ger_double_buffered_kernelILb0ELi64ELi16ELi2E19rocblas_complex_numIdE24rocblas_internal_val_ptrIS1_EPKPKS1_PKPS1_EvbiiT4_lT5_lllSC_lllT6_lmli.numbered_sgpr, 28
	.set _ZL34rocblas_ger_double_buffered_kernelILb0ELi64ELi16ELi2E19rocblas_complex_numIdE24rocblas_internal_val_ptrIS1_EPKPKS1_PKPS1_EvbiiT4_lT5_lllSC_lllT6_lmli.num_named_barrier, 0
	.set _ZL34rocblas_ger_double_buffered_kernelILb0ELi64ELi16ELi2E19rocblas_complex_numIdE24rocblas_internal_val_ptrIS1_EPKPKS1_PKPS1_EvbiiT4_lT5_lllSC_lllT6_lmli.private_seg_size, 0
	.set _ZL34rocblas_ger_double_buffered_kernelILb0ELi64ELi16ELi2E19rocblas_complex_numIdE24rocblas_internal_val_ptrIS1_EPKPKS1_PKPS1_EvbiiT4_lT5_lllSC_lllT6_lmli.uses_vcc, 1
	.set _ZL34rocblas_ger_double_buffered_kernelILb0ELi64ELi16ELi2E19rocblas_complex_numIdE24rocblas_internal_val_ptrIS1_EPKPKS1_PKPS1_EvbiiT4_lT5_lllSC_lllT6_lmli.uses_flat_scratch, 0
	.set _ZL34rocblas_ger_double_buffered_kernelILb0ELi64ELi16ELi2E19rocblas_complex_numIdE24rocblas_internal_val_ptrIS1_EPKPKS1_PKPS1_EvbiiT4_lT5_lllSC_lllT6_lmli.has_dyn_sized_stack, 0
	.set _ZL34rocblas_ger_double_buffered_kernelILb0ELi64ELi16ELi2E19rocblas_complex_numIdE24rocblas_internal_val_ptrIS1_EPKPKS1_PKPS1_EvbiiT4_lT5_lllSC_lllT6_lmli.has_recursion, 0
	.set _ZL34rocblas_ger_double_buffered_kernelILb0ELi64ELi16ELi2E19rocblas_complex_numIdE24rocblas_internal_val_ptrIS1_EPKPKS1_PKPS1_EvbiiT4_lT5_lllSC_lllT6_lmli.has_indirect_call, 0
	.section	.AMDGPU.csdata,"",@progbits
; Kernel info:
; codeLenInByte = 1048
; TotalNumSgprs: 32
; NumVgprs: 37
; ScratchSize: 0
; MemoryBound: 0
; FloatMode: 240
; IeeeMode: 1
; LDSByteSize: 0 bytes/workgroup (compile time only)
; SGPRBlocks: 3
; VGPRBlocks: 9
; NumSGPRsForWavesPerEU: 32
; NumVGPRsForWavesPerEU: 37
; Occupancy: 6
; WaveLimiterHint : 1
; COMPUTE_PGM_RSRC2:SCRATCH_EN: 0
; COMPUTE_PGM_RSRC2:USER_SGPR: 6
; COMPUTE_PGM_RSRC2:TRAP_HANDLER: 0
; COMPUTE_PGM_RSRC2:TGID_X_EN: 1
; COMPUTE_PGM_RSRC2:TGID_Y_EN: 1
; COMPUTE_PGM_RSRC2:TGID_Z_EN: 1
; COMPUTE_PGM_RSRC2:TIDIG_COMP_CNT: 1
	.section	.text._ZL26rocblas_sger_gfx942_kernelILi256E19rocblas_complex_numIdEPKS1_PKS3_PKPS1_EviiT1_lT2_lllSA_lllT3_lll,"axG",@progbits,_ZL26rocblas_sger_gfx942_kernelILi256E19rocblas_complex_numIdEPKS1_PKS3_PKPS1_EviiT1_lT2_lllSA_lllT3_lll,comdat
	.globl	_ZL26rocblas_sger_gfx942_kernelILi256E19rocblas_complex_numIdEPKS1_PKS3_PKPS1_EviiT1_lT2_lllSA_lllT3_lll ; -- Begin function _ZL26rocblas_sger_gfx942_kernelILi256E19rocblas_complex_numIdEPKS1_PKS3_PKPS1_EviiT1_lT2_lllSA_lllT3_lll
	.p2align	8
	.type	_ZL26rocblas_sger_gfx942_kernelILi256E19rocblas_complex_numIdEPKS1_PKS3_PKPS1_EviiT1_lT2_lllSA_lllT3_lll,@function
_ZL26rocblas_sger_gfx942_kernelILi256E19rocblas_complex_numIdEPKS1_PKS3_PKPS1_EviiT1_lT2_lllSA_lllT3_lll: ; @_ZL26rocblas_sger_gfx942_kernelILi256E19rocblas_complex_numIdEPKS1_PKS3_PKPS1_EviiT1_lT2_lllSA_lllT3_lll
; %bb.0:
	s_endpgm
	.section	.rodata,"a",@progbits
	.p2align	6, 0x0
	.amdhsa_kernel _ZL26rocblas_sger_gfx942_kernelILi256E19rocblas_complex_numIdEPKS1_PKS3_PKPS1_EviiT1_lT2_lllSA_lllT3_lll
		.amdhsa_group_segment_fixed_size 0
		.amdhsa_private_segment_fixed_size 0
		.amdhsa_kernarg_size 120
		.amdhsa_user_sgpr_count 6
		.amdhsa_user_sgpr_private_segment_buffer 1
		.amdhsa_user_sgpr_dispatch_ptr 0
		.amdhsa_user_sgpr_queue_ptr 0
		.amdhsa_user_sgpr_kernarg_segment_ptr 1
		.amdhsa_user_sgpr_dispatch_id 0
		.amdhsa_user_sgpr_flat_scratch_init 0
		.amdhsa_user_sgpr_private_segment_size 0
		.amdhsa_uses_dynamic_stack 0
		.amdhsa_system_sgpr_private_segment_wavefront_offset 0
		.amdhsa_system_sgpr_workgroup_id_x 1
		.amdhsa_system_sgpr_workgroup_id_y 0
		.amdhsa_system_sgpr_workgroup_id_z 0
		.amdhsa_system_sgpr_workgroup_info 0
		.amdhsa_system_vgpr_workitem_id 0
		.amdhsa_next_free_vgpr 1
		.amdhsa_next_free_sgpr 0
		.amdhsa_reserve_vcc 0
		.amdhsa_reserve_flat_scratch 0
		.amdhsa_float_round_mode_32 0
		.amdhsa_float_round_mode_16_64 0
		.amdhsa_float_denorm_mode_32 3
		.amdhsa_float_denorm_mode_16_64 3
		.amdhsa_dx10_clamp 1
		.amdhsa_ieee_mode 1
		.amdhsa_fp16_overflow 0
		.amdhsa_exception_fp_ieee_invalid_op 0
		.amdhsa_exception_fp_denorm_src 0
		.amdhsa_exception_fp_ieee_div_zero 0
		.amdhsa_exception_fp_ieee_overflow 0
		.amdhsa_exception_fp_ieee_underflow 0
		.amdhsa_exception_fp_ieee_inexact 0
		.amdhsa_exception_int_div_zero 0
	.end_amdhsa_kernel
	.section	.text._ZL26rocblas_sger_gfx942_kernelILi256E19rocblas_complex_numIdEPKS1_PKS3_PKPS1_EviiT1_lT2_lllSA_lllT3_lll,"axG",@progbits,_ZL26rocblas_sger_gfx942_kernelILi256E19rocblas_complex_numIdEPKS1_PKS3_PKPS1_EviiT1_lT2_lllSA_lllT3_lll,comdat
.Lfunc_end56:
	.size	_ZL26rocblas_sger_gfx942_kernelILi256E19rocblas_complex_numIdEPKS1_PKS3_PKPS1_EviiT1_lT2_lllSA_lllT3_lll, .Lfunc_end56-_ZL26rocblas_sger_gfx942_kernelILi256E19rocblas_complex_numIdEPKS1_PKS3_PKPS1_EviiT1_lT2_lllSA_lllT3_lll
                                        ; -- End function
	.set _ZL26rocblas_sger_gfx942_kernelILi256E19rocblas_complex_numIdEPKS1_PKS3_PKPS1_EviiT1_lT2_lllSA_lllT3_lll.num_vgpr, 0
	.set _ZL26rocblas_sger_gfx942_kernelILi256E19rocblas_complex_numIdEPKS1_PKS3_PKPS1_EviiT1_lT2_lllSA_lllT3_lll.num_agpr, 0
	.set _ZL26rocblas_sger_gfx942_kernelILi256E19rocblas_complex_numIdEPKS1_PKS3_PKPS1_EviiT1_lT2_lllSA_lllT3_lll.numbered_sgpr, 0
	.set _ZL26rocblas_sger_gfx942_kernelILi256E19rocblas_complex_numIdEPKS1_PKS3_PKPS1_EviiT1_lT2_lllSA_lllT3_lll.num_named_barrier, 0
	.set _ZL26rocblas_sger_gfx942_kernelILi256E19rocblas_complex_numIdEPKS1_PKS3_PKPS1_EviiT1_lT2_lllSA_lllT3_lll.private_seg_size, 0
	.set _ZL26rocblas_sger_gfx942_kernelILi256E19rocblas_complex_numIdEPKS1_PKS3_PKPS1_EviiT1_lT2_lllSA_lllT3_lll.uses_vcc, 0
	.set _ZL26rocblas_sger_gfx942_kernelILi256E19rocblas_complex_numIdEPKS1_PKS3_PKPS1_EviiT1_lT2_lllSA_lllT3_lll.uses_flat_scratch, 0
	.set _ZL26rocblas_sger_gfx942_kernelILi256E19rocblas_complex_numIdEPKS1_PKS3_PKPS1_EviiT1_lT2_lllSA_lllT3_lll.has_dyn_sized_stack, 0
	.set _ZL26rocblas_sger_gfx942_kernelILi256E19rocblas_complex_numIdEPKS1_PKS3_PKPS1_EviiT1_lT2_lllSA_lllT3_lll.has_recursion, 0
	.set _ZL26rocblas_sger_gfx942_kernelILi256E19rocblas_complex_numIdEPKS1_PKS3_PKPS1_EviiT1_lT2_lllSA_lllT3_lll.has_indirect_call, 0
	.section	.AMDGPU.csdata,"",@progbits
; Kernel info:
; codeLenInByte = 4
; TotalNumSgprs: 4
; NumVgprs: 0
; ScratchSize: 0
; MemoryBound: 0
; FloatMode: 240
; IeeeMode: 1
; LDSByteSize: 0 bytes/workgroup (compile time only)
; SGPRBlocks: 0
; VGPRBlocks: 0
; NumSGPRsForWavesPerEU: 4
; NumVGPRsForWavesPerEU: 1
; Occupancy: 10
; WaveLimiterHint : 0
; COMPUTE_PGM_RSRC2:SCRATCH_EN: 0
; COMPUTE_PGM_RSRC2:USER_SGPR: 6
; COMPUTE_PGM_RSRC2:TRAP_HANDLER: 0
; COMPUTE_PGM_RSRC2:TGID_X_EN: 1
; COMPUTE_PGM_RSRC2:TGID_Y_EN: 0
; COMPUTE_PGM_RSRC2:TGID_Z_EN: 0
; COMPUTE_PGM_RSRC2:TIDIG_COMP_CNT: 0
	.section	.text._ZL26rocblas_sger_gfx942_kernelILi256E19rocblas_complex_numIdES1_PKPKS1_PKPS1_EviiT1_lT2_lllSA_lllT3_lll,"axG",@progbits,_ZL26rocblas_sger_gfx942_kernelILi256E19rocblas_complex_numIdES1_PKPKS1_PKPS1_EviiT1_lT2_lllSA_lllT3_lll,comdat
	.globl	_ZL26rocblas_sger_gfx942_kernelILi256E19rocblas_complex_numIdES1_PKPKS1_PKPS1_EviiT1_lT2_lllSA_lllT3_lll ; -- Begin function _ZL26rocblas_sger_gfx942_kernelILi256E19rocblas_complex_numIdES1_PKPKS1_PKPS1_EviiT1_lT2_lllSA_lllT3_lll
	.p2align	8
	.type	_ZL26rocblas_sger_gfx942_kernelILi256E19rocblas_complex_numIdES1_PKPKS1_PKPS1_EviiT1_lT2_lllSA_lllT3_lll,@function
_ZL26rocblas_sger_gfx942_kernelILi256E19rocblas_complex_numIdES1_PKPKS1_PKPS1_EviiT1_lT2_lllSA_lllT3_lll: ; @_ZL26rocblas_sger_gfx942_kernelILi256E19rocblas_complex_numIdES1_PKPKS1_PKPS1_EviiT1_lT2_lllSA_lllT3_lll
; %bb.0:
	s_endpgm
	.section	.rodata,"a",@progbits
	.p2align	6, 0x0
	.amdhsa_kernel _ZL26rocblas_sger_gfx942_kernelILi256E19rocblas_complex_numIdES1_PKPKS1_PKPS1_EviiT1_lT2_lllSA_lllT3_lll
		.amdhsa_group_segment_fixed_size 0
		.amdhsa_private_segment_fixed_size 0
		.amdhsa_kernarg_size 128
		.amdhsa_user_sgpr_count 6
		.amdhsa_user_sgpr_private_segment_buffer 1
		.amdhsa_user_sgpr_dispatch_ptr 0
		.amdhsa_user_sgpr_queue_ptr 0
		.amdhsa_user_sgpr_kernarg_segment_ptr 1
		.amdhsa_user_sgpr_dispatch_id 0
		.amdhsa_user_sgpr_flat_scratch_init 0
		.amdhsa_user_sgpr_private_segment_size 0
		.amdhsa_uses_dynamic_stack 0
		.amdhsa_system_sgpr_private_segment_wavefront_offset 0
		.amdhsa_system_sgpr_workgroup_id_x 1
		.amdhsa_system_sgpr_workgroup_id_y 0
		.amdhsa_system_sgpr_workgroup_id_z 0
		.amdhsa_system_sgpr_workgroup_info 0
		.amdhsa_system_vgpr_workitem_id 0
		.amdhsa_next_free_vgpr 1
		.amdhsa_next_free_sgpr 0
		.amdhsa_reserve_vcc 0
		.amdhsa_reserve_flat_scratch 0
		.amdhsa_float_round_mode_32 0
		.amdhsa_float_round_mode_16_64 0
		.amdhsa_float_denorm_mode_32 3
		.amdhsa_float_denorm_mode_16_64 3
		.amdhsa_dx10_clamp 1
		.amdhsa_ieee_mode 1
		.amdhsa_fp16_overflow 0
		.amdhsa_exception_fp_ieee_invalid_op 0
		.amdhsa_exception_fp_denorm_src 0
		.amdhsa_exception_fp_ieee_div_zero 0
		.amdhsa_exception_fp_ieee_overflow 0
		.amdhsa_exception_fp_ieee_underflow 0
		.amdhsa_exception_fp_ieee_inexact 0
		.amdhsa_exception_int_div_zero 0
	.end_amdhsa_kernel
	.section	.text._ZL26rocblas_sger_gfx942_kernelILi256E19rocblas_complex_numIdES1_PKPKS1_PKPS1_EviiT1_lT2_lllSA_lllT3_lll,"axG",@progbits,_ZL26rocblas_sger_gfx942_kernelILi256E19rocblas_complex_numIdES1_PKPKS1_PKPS1_EviiT1_lT2_lllSA_lllT3_lll,comdat
.Lfunc_end57:
	.size	_ZL26rocblas_sger_gfx942_kernelILi256E19rocblas_complex_numIdES1_PKPKS1_PKPS1_EviiT1_lT2_lllSA_lllT3_lll, .Lfunc_end57-_ZL26rocblas_sger_gfx942_kernelILi256E19rocblas_complex_numIdES1_PKPKS1_PKPS1_EviiT1_lT2_lllSA_lllT3_lll
                                        ; -- End function
	.set _ZL26rocblas_sger_gfx942_kernelILi256E19rocblas_complex_numIdES1_PKPKS1_PKPS1_EviiT1_lT2_lllSA_lllT3_lll.num_vgpr, 0
	.set _ZL26rocblas_sger_gfx942_kernelILi256E19rocblas_complex_numIdES1_PKPKS1_PKPS1_EviiT1_lT2_lllSA_lllT3_lll.num_agpr, 0
	.set _ZL26rocblas_sger_gfx942_kernelILi256E19rocblas_complex_numIdES1_PKPKS1_PKPS1_EviiT1_lT2_lllSA_lllT3_lll.numbered_sgpr, 0
	.set _ZL26rocblas_sger_gfx942_kernelILi256E19rocblas_complex_numIdES1_PKPKS1_PKPS1_EviiT1_lT2_lllSA_lllT3_lll.num_named_barrier, 0
	.set _ZL26rocblas_sger_gfx942_kernelILi256E19rocblas_complex_numIdES1_PKPKS1_PKPS1_EviiT1_lT2_lllSA_lllT3_lll.private_seg_size, 0
	.set _ZL26rocblas_sger_gfx942_kernelILi256E19rocblas_complex_numIdES1_PKPKS1_PKPS1_EviiT1_lT2_lllSA_lllT3_lll.uses_vcc, 0
	.set _ZL26rocblas_sger_gfx942_kernelILi256E19rocblas_complex_numIdES1_PKPKS1_PKPS1_EviiT1_lT2_lllSA_lllT3_lll.uses_flat_scratch, 0
	.set _ZL26rocblas_sger_gfx942_kernelILi256E19rocblas_complex_numIdES1_PKPKS1_PKPS1_EviiT1_lT2_lllSA_lllT3_lll.has_dyn_sized_stack, 0
	.set _ZL26rocblas_sger_gfx942_kernelILi256E19rocblas_complex_numIdES1_PKPKS1_PKPS1_EviiT1_lT2_lllSA_lllT3_lll.has_recursion, 0
	.set _ZL26rocblas_sger_gfx942_kernelILi256E19rocblas_complex_numIdES1_PKPKS1_PKPS1_EviiT1_lT2_lllSA_lllT3_lll.has_indirect_call, 0
	.section	.AMDGPU.csdata,"",@progbits
; Kernel info:
; codeLenInByte = 4
; TotalNumSgprs: 4
; NumVgprs: 0
; ScratchSize: 0
; MemoryBound: 0
; FloatMode: 240
; IeeeMode: 1
; LDSByteSize: 0 bytes/workgroup (compile time only)
; SGPRBlocks: 0
; VGPRBlocks: 0
; NumSGPRsForWavesPerEU: 4
; NumVGPRsForWavesPerEU: 1
; Occupancy: 10
; WaveLimiterHint : 0
; COMPUTE_PGM_RSRC2:SCRATCH_EN: 0
; COMPUTE_PGM_RSRC2:USER_SGPR: 6
; COMPUTE_PGM_RSRC2:TRAP_HANDLER: 0
; COMPUTE_PGM_RSRC2:TGID_X_EN: 1
; COMPUTE_PGM_RSRC2:TGID_Y_EN: 0
; COMPUTE_PGM_RSRC2:TGID_Z_EN: 0
; COMPUTE_PGM_RSRC2:TIDIG_COMP_CNT: 0
	.section	.text._ZL19rocblas_sger_kernelILi1024E19rocblas_complex_numIdEPKS1_PKS3_PKPS1_EviiT1_lT2_lllSA_lllT3_lmli,"axG",@progbits,_ZL19rocblas_sger_kernelILi1024E19rocblas_complex_numIdEPKS1_PKS3_PKPS1_EviiT1_lT2_lllSA_lllT3_lmli,comdat
	.globl	_ZL19rocblas_sger_kernelILi1024E19rocblas_complex_numIdEPKS1_PKS3_PKPS1_EviiT1_lT2_lllSA_lllT3_lmli ; -- Begin function _ZL19rocblas_sger_kernelILi1024E19rocblas_complex_numIdEPKS1_PKS3_PKPS1_EviiT1_lT2_lllSA_lllT3_lmli
	.p2align	8
	.type	_ZL19rocblas_sger_kernelILi1024E19rocblas_complex_numIdEPKS1_PKS3_PKPS1_EviiT1_lT2_lllSA_lllT3_lmli,@function
_ZL19rocblas_sger_kernelILi1024E19rocblas_complex_numIdEPKS1_PKS3_PKPS1_EviiT1_lT2_lllSA_lllT3_lmli: ; @_ZL19rocblas_sger_kernelILi1024E19rocblas_complex_numIdEPKS1_PKS3_PKPS1_EviiT1_lT2_lllSA_lllT3_lmli
; %bb.0:
	s_load_dwordx4 s[0:3], s[4:5], 0x8
	s_mov_b32 s16, s7
	s_waitcnt lgkmcnt(0)
	s_mul_i32 s3, s3, s7
	s_mul_hi_u32 s7, s2, s7
	s_add_i32 s3, s7, s3
	s_mul_i32 s2, s2, s16
	s_lshl_b64 s[2:3], s[2:3], 4
	s_add_u32 s8, s0, s2
	s_addc_u32 s9, s1, s3
	s_load_dwordx4 s[0:3], s[8:9], 0x0
	s_waitcnt lgkmcnt(0)
	v_cmp_neq_f64_e64 s[8:9], s[0:1], 0
	v_cmp_neq_f64_e64 s[10:11], s[2:3], 0
	s_or_b64 s[8:9], s[8:9], s[10:11]
	s_andn2_b64 vcc, exec, s[8:9]
	s_cbranch_vccnz .LBB58_4
; %bb.1:
	s_load_dword s7, s[4:5], 0x0
	s_waitcnt lgkmcnt(0)
	v_cmp_gt_i32_e32 vcc, s7, v0
	s_and_saveexec_b64 s[8:9], vcc
	s_cbranch_execz .LBB58_4
; %bb.2:
	s_mov_b32 s17, 0
	s_load_dwordx2 s[18:19], s[4:5], 0x18
	s_load_dwordx4 s[8:11], s[4:5], 0x20
	s_load_dwordx2 s[20:21], s[4:5], 0x38
	s_load_dwordx4 s[12:15], s[4:5], 0x40
	s_lshl_b64 s[22:23], s[16:17], 3
	s_waitcnt lgkmcnt(0)
	s_add_u32 s24, s18, s22
	s_addc_u32 s25, s19, s23
	s_add_u32 s20, s20, s22
	s_addc_u32 s21, s21, s23
	s_load_dwordx2 s[26:27], s[20:21], 0x0
	s_load_dwordx2 s[28:29], s[4:5], 0x58
	s_load_dwordx4 s[16:19], s[4:5], 0x60
	s_lshl_b64 s[4:5], s[12:13], 4
	s_waitcnt lgkmcnt(0)
	s_add_u32 s20, s26, s4
	s_addc_u32 s21, s27, s5
	s_add_u32 s4, s28, s22
	s_addc_u32 s5, s29, s23
	s_load_dwordx2 s[4:5], s[4:5], 0x0
	s_lshl_b64 s[12:13], s[16:17], 4
	s_mul_hi_u32 s22, s18, s6
	s_mul_i32 s19, s19, s6
	s_waitcnt lgkmcnt(0)
	s_add_u32 s16, s4, s12
	s_addc_u32 s17, s5, s13
	s_ashr_i32 s12, s6, 31
	s_mul_i32 s4, s18, s12
	s_mul_hi_u32 s13, s14, s6
	s_mul_i32 s12, s14, s12
	s_add_i32 s4, s22, s4
	s_add_i32 s12, s13, s12
	s_mul_i32 s13, s15, s6
	s_add_i32 s5, s4, s19
	s_mul_i32 s4, s18, s6
	;; [unrolled: 2-line block ×3, first 2 shown]
	s_lshl_b64 s[4:5], s[4:5], 4
	s_lshl_b64 s[12:13], s[12:13], 4
	s_add_u32 s12, s20, s12
	s_addc_u32 s13, s21, s13
	v_mov_b32_e32 v1, s12
	v_mov_b32_e32 v2, s13
	flat_load_dwordx4 v[5:8], v[1:2]
	v_mad_u64_u32 v[1:2], s[12:13], s10, v0, 0
	v_mov_b32_e32 v12, s5
	v_mad_u64_u32 v[2:3], s[12:13], s11, v0, v[2:3]
	v_cndmask_b32_e32 v3, 0, v0, vcc
	v_lshlrev_b32_e32 v3, 4, v3
	v_lshlrev_b64 v[9:10], 4, v[1:2]
	v_add_co_u32_e32 v2, vcc, s16, v3
	s_load_dwordx2 s[12:13], s[24:25], 0x0
	v_mov_b32_e32 v1, s17
	v_addc_co_u32_e32 v11, vcc, 0, v1, vcc
	v_add_co_u32_e32 v1, vcc, s4, v2
	s_lshl_b64 s[4:5], s[8:9], 4
	s_waitcnt lgkmcnt(0)
	s_add_u32 s4, s12, s4
	v_addc_co_u32_e32 v2, vcc, v11, v12, vcc
	s_addc_u32 s5, s13, s5
	s_waitcnt vmcnt(0)
	v_mul_f64 v[3:4], s[2:3], v[7:8]
	v_mul_f64 v[7:8], s[0:1], v[7:8]
	v_fma_f64 v[3:4], s[0:1], v[5:6], -v[3:4]
	v_fma_f64 v[5:6], s[2:3], v[5:6], v[7:8]
	v_mov_b32_e32 v8, s5
	v_add_co_u32_e32 v7, vcc, s4, v9
	s_lshl_b64 s[0:1], s[10:11], 14
	v_addc_co_u32_e32 v8, vcc, v8, v10, vcc
	s_mov_b64 s[2:3], 0
	v_mov_b32_e32 v9, s1
.LBB58_3:                               ; =>This Inner Loop Header: Depth=1
	flat_load_dwordx4 v[10:13], v[7:8]
	v_add_co_u32_e32 v7, vcc, s0, v7
	v_addc_co_u32_e32 v8, vcc, v8, v9, vcc
	v_add_u32_e32 v0, 0x400, v0
	v_cmp_le_i32_e32 vcc, s7, v0
	s_or_b64 s[2:3], vcc, s[2:3]
	s_waitcnt vmcnt(0) lgkmcnt(0)
	v_mul_f64 v[14:15], v[5:6], v[12:13]
	v_mul_f64 v[12:13], v[3:4], v[12:13]
	v_fma_f64 v[14:15], v[3:4], v[10:11], -v[14:15]
	v_fma_f64 v[16:17], v[5:6], v[10:11], v[12:13]
	flat_load_dwordx4 v[10:13], v[1:2]
	s_waitcnt vmcnt(0) lgkmcnt(0)
	v_add_f64 v[10:11], v[10:11], v[14:15]
	v_add_f64 v[12:13], v[16:17], v[12:13]
	flat_store_dwordx4 v[1:2], v[10:13]
	v_add_co_u32_e32 v1, vcc, 0x4000, v1
	v_addc_co_u32_e32 v2, vcc, 0, v2, vcc
	s_andn2_b64 exec, exec, s[2:3]
	s_cbranch_execnz .LBB58_3
.LBB58_4:
	s_endpgm
	.section	.rodata,"a",@progbits
	.p2align	6, 0x0
	.amdhsa_kernel _ZL19rocblas_sger_kernelILi1024E19rocblas_complex_numIdEPKS1_PKS3_PKPS1_EviiT1_lT2_lllSA_lllT3_lmli
		.amdhsa_group_segment_fixed_size 0
		.amdhsa_private_segment_fixed_size 0
		.amdhsa_kernarg_size 124
		.amdhsa_user_sgpr_count 6
		.amdhsa_user_sgpr_private_segment_buffer 1
		.amdhsa_user_sgpr_dispatch_ptr 0
		.amdhsa_user_sgpr_queue_ptr 0
		.amdhsa_user_sgpr_kernarg_segment_ptr 1
		.amdhsa_user_sgpr_dispatch_id 0
		.amdhsa_user_sgpr_flat_scratch_init 0
		.amdhsa_user_sgpr_private_segment_size 0
		.amdhsa_uses_dynamic_stack 0
		.amdhsa_system_sgpr_private_segment_wavefront_offset 0
		.amdhsa_system_sgpr_workgroup_id_x 1
		.amdhsa_system_sgpr_workgroup_id_y 0
		.amdhsa_system_sgpr_workgroup_id_z 1
		.amdhsa_system_sgpr_workgroup_info 0
		.amdhsa_system_vgpr_workitem_id 0
		.amdhsa_next_free_vgpr 18
		.amdhsa_next_free_sgpr 30
		.amdhsa_reserve_vcc 1
		.amdhsa_reserve_flat_scratch 0
		.amdhsa_float_round_mode_32 0
		.amdhsa_float_round_mode_16_64 0
		.amdhsa_float_denorm_mode_32 3
		.amdhsa_float_denorm_mode_16_64 3
		.amdhsa_dx10_clamp 1
		.amdhsa_ieee_mode 1
		.amdhsa_fp16_overflow 0
		.amdhsa_exception_fp_ieee_invalid_op 0
		.amdhsa_exception_fp_denorm_src 0
		.amdhsa_exception_fp_ieee_div_zero 0
		.amdhsa_exception_fp_ieee_overflow 0
		.amdhsa_exception_fp_ieee_underflow 0
		.amdhsa_exception_fp_ieee_inexact 0
		.amdhsa_exception_int_div_zero 0
	.end_amdhsa_kernel
	.section	.text._ZL19rocblas_sger_kernelILi1024E19rocblas_complex_numIdEPKS1_PKS3_PKPS1_EviiT1_lT2_lllSA_lllT3_lmli,"axG",@progbits,_ZL19rocblas_sger_kernelILi1024E19rocblas_complex_numIdEPKS1_PKS3_PKPS1_EviiT1_lT2_lllSA_lllT3_lmli,comdat
.Lfunc_end58:
	.size	_ZL19rocblas_sger_kernelILi1024E19rocblas_complex_numIdEPKS1_PKS3_PKPS1_EviiT1_lT2_lllSA_lllT3_lmli, .Lfunc_end58-_ZL19rocblas_sger_kernelILi1024E19rocblas_complex_numIdEPKS1_PKS3_PKPS1_EviiT1_lT2_lllSA_lllT3_lmli
                                        ; -- End function
	.set _ZL19rocblas_sger_kernelILi1024E19rocblas_complex_numIdEPKS1_PKS3_PKPS1_EviiT1_lT2_lllSA_lllT3_lmli.num_vgpr, 18
	.set _ZL19rocblas_sger_kernelILi1024E19rocblas_complex_numIdEPKS1_PKS3_PKPS1_EviiT1_lT2_lllSA_lllT3_lmli.num_agpr, 0
	.set _ZL19rocblas_sger_kernelILi1024E19rocblas_complex_numIdEPKS1_PKS3_PKPS1_EviiT1_lT2_lllSA_lllT3_lmli.numbered_sgpr, 30
	.set _ZL19rocblas_sger_kernelILi1024E19rocblas_complex_numIdEPKS1_PKS3_PKPS1_EviiT1_lT2_lllSA_lllT3_lmli.num_named_barrier, 0
	.set _ZL19rocblas_sger_kernelILi1024E19rocblas_complex_numIdEPKS1_PKS3_PKPS1_EviiT1_lT2_lllSA_lllT3_lmli.private_seg_size, 0
	.set _ZL19rocblas_sger_kernelILi1024E19rocblas_complex_numIdEPKS1_PKS3_PKPS1_EviiT1_lT2_lllSA_lllT3_lmli.uses_vcc, 1
	.set _ZL19rocblas_sger_kernelILi1024E19rocblas_complex_numIdEPKS1_PKS3_PKPS1_EviiT1_lT2_lllSA_lllT3_lmli.uses_flat_scratch, 0
	.set _ZL19rocblas_sger_kernelILi1024E19rocblas_complex_numIdEPKS1_PKS3_PKPS1_EviiT1_lT2_lllSA_lllT3_lmli.has_dyn_sized_stack, 0
	.set _ZL19rocblas_sger_kernelILi1024E19rocblas_complex_numIdEPKS1_PKS3_PKPS1_EviiT1_lT2_lllSA_lllT3_lmli.has_recursion, 0
	.set _ZL19rocblas_sger_kernelILi1024E19rocblas_complex_numIdEPKS1_PKS3_PKPS1_EviiT1_lT2_lllSA_lllT3_lmli.has_indirect_call, 0
	.section	.AMDGPU.csdata,"",@progbits
; Kernel info:
; codeLenInByte = 592
; TotalNumSgprs: 34
; NumVgprs: 18
; ScratchSize: 0
; MemoryBound: 0
; FloatMode: 240
; IeeeMode: 1
; LDSByteSize: 0 bytes/workgroup (compile time only)
; SGPRBlocks: 4
; VGPRBlocks: 4
; NumSGPRsForWavesPerEU: 34
; NumVGPRsForWavesPerEU: 18
; Occupancy: 10
; WaveLimiterHint : 1
; COMPUTE_PGM_RSRC2:SCRATCH_EN: 0
; COMPUTE_PGM_RSRC2:USER_SGPR: 6
; COMPUTE_PGM_RSRC2:TRAP_HANDLER: 0
; COMPUTE_PGM_RSRC2:TGID_X_EN: 1
; COMPUTE_PGM_RSRC2:TGID_Y_EN: 0
; COMPUTE_PGM_RSRC2:TGID_Z_EN: 1
; COMPUTE_PGM_RSRC2:TIDIG_COMP_CNT: 0
	.section	.text._ZL19rocblas_sger_kernelILi1024E19rocblas_complex_numIdES1_PKPKS1_PKPS1_EviiT1_lT2_lllSA_lllT3_lmli,"axG",@progbits,_ZL19rocblas_sger_kernelILi1024E19rocblas_complex_numIdES1_PKPKS1_PKPS1_EviiT1_lT2_lllSA_lllT3_lmli,comdat
	.globl	_ZL19rocblas_sger_kernelILi1024E19rocblas_complex_numIdES1_PKPKS1_PKPS1_EviiT1_lT2_lllSA_lllT3_lmli ; -- Begin function _ZL19rocblas_sger_kernelILi1024E19rocblas_complex_numIdES1_PKPKS1_PKPS1_EviiT1_lT2_lllSA_lllT3_lmli
	.p2align	8
	.type	_ZL19rocblas_sger_kernelILi1024E19rocblas_complex_numIdES1_PKPKS1_PKPS1_EviiT1_lT2_lllSA_lllT3_lmli,@function
_ZL19rocblas_sger_kernelILi1024E19rocblas_complex_numIdES1_PKPKS1_PKPS1_EviiT1_lT2_lllSA_lllT3_lmli: ; @_ZL19rocblas_sger_kernelILi1024E19rocblas_complex_numIdES1_PKPKS1_PKPS1_EviiT1_lT2_lllSA_lllT3_lmli
; %bb.0:
	s_load_dwordx4 s[0:3], s[4:5], 0x8
	s_waitcnt lgkmcnt(0)
	v_cmp_neq_f64_e64 s[8:9], s[0:1], 0
	v_cmp_neq_f64_e64 s[10:11], s[2:3], 0
	s_or_b64 s[8:9], s[8:9], s[10:11]
	s_andn2_b64 vcc, exec, s[8:9]
	s_cbranch_vccnz .LBB59_4
; %bb.1:
	s_mov_b32 s16, s7
	s_load_dword s7, s[4:5], 0x0
	s_waitcnt lgkmcnt(0)
	v_cmp_gt_i32_e32 vcc, s7, v0
	s_and_saveexec_b64 s[8:9], vcc
	s_cbranch_execz .LBB59_4
; %bb.2:
	s_load_dwordx2 s[18:19], s[4:5], 0x20
	s_load_dwordx4 s[8:11], s[4:5], 0x28
	s_load_dwordx2 s[20:21], s[4:5], 0x40
	s_load_dwordx4 s[12:15], s[4:5], 0x48
	s_mov_b32 s17, 0
	s_lshl_b64 s[22:23], s[16:17], 3
	s_waitcnt lgkmcnt(0)
	s_add_u32 s24, s18, s22
	s_addc_u32 s25, s19, s23
	s_add_u32 s20, s20, s22
	s_addc_u32 s21, s21, s23
	s_load_dwordx2 s[26:27], s[20:21], 0x0
	s_load_dwordx2 s[28:29], s[4:5], 0x60
	s_load_dwordx4 s[16:19], s[4:5], 0x68
	s_lshl_b64 s[4:5], s[12:13], 4
	s_waitcnt lgkmcnt(0)
	s_add_u32 s20, s26, s4
	s_addc_u32 s21, s27, s5
	s_add_u32 s4, s28, s22
	s_addc_u32 s5, s29, s23
	s_load_dwordx2 s[4:5], s[4:5], 0x0
	s_lshl_b64 s[12:13], s[16:17], 4
	s_mul_hi_u32 s22, s18, s6
	s_mul_i32 s19, s19, s6
	s_waitcnt lgkmcnt(0)
	s_add_u32 s16, s4, s12
	s_addc_u32 s17, s5, s13
	s_ashr_i32 s12, s6, 31
	s_mul_i32 s4, s18, s12
	s_mul_hi_u32 s13, s14, s6
	s_mul_i32 s12, s14, s12
	s_add_i32 s4, s22, s4
	s_add_i32 s12, s13, s12
	s_mul_i32 s13, s15, s6
	s_add_i32 s5, s4, s19
	s_mul_i32 s4, s18, s6
	;; [unrolled: 2-line block ×3, first 2 shown]
	s_lshl_b64 s[4:5], s[4:5], 4
	s_lshl_b64 s[12:13], s[12:13], 4
	s_add_u32 s12, s20, s12
	s_addc_u32 s13, s21, s13
	v_mov_b32_e32 v1, s12
	v_mov_b32_e32 v2, s13
	flat_load_dwordx4 v[5:8], v[1:2]
	v_mad_u64_u32 v[1:2], s[12:13], s10, v0, 0
	v_mov_b32_e32 v12, s5
	v_mad_u64_u32 v[2:3], s[12:13], s11, v0, v[2:3]
	v_cndmask_b32_e32 v3, 0, v0, vcc
	v_lshlrev_b32_e32 v3, 4, v3
	v_lshlrev_b64 v[9:10], 4, v[1:2]
	v_add_co_u32_e32 v2, vcc, s16, v3
	s_load_dwordx2 s[12:13], s[24:25], 0x0
	v_mov_b32_e32 v1, s17
	v_addc_co_u32_e32 v11, vcc, 0, v1, vcc
	v_add_co_u32_e32 v1, vcc, s4, v2
	s_lshl_b64 s[4:5], s[8:9], 4
	s_waitcnt lgkmcnt(0)
	s_add_u32 s4, s12, s4
	v_addc_co_u32_e32 v2, vcc, v11, v12, vcc
	s_addc_u32 s5, s13, s5
	s_waitcnt vmcnt(0)
	v_mul_f64 v[3:4], s[2:3], v[7:8]
	v_mul_f64 v[7:8], s[0:1], v[7:8]
	v_fma_f64 v[3:4], s[0:1], v[5:6], -v[3:4]
	v_fma_f64 v[5:6], s[2:3], v[5:6], v[7:8]
	v_mov_b32_e32 v8, s5
	v_add_co_u32_e32 v7, vcc, s4, v9
	s_lshl_b64 s[0:1], s[10:11], 14
	v_addc_co_u32_e32 v8, vcc, v8, v10, vcc
	s_mov_b64 s[2:3], 0
	v_mov_b32_e32 v9, s1
.LBB59_3:                               ; =>This Inner Loop Header: Depth=1
	flat_load_dwordx4 v[10:13], v[7:8]
	v_add_co_u32_e32 v7, vcc, s0, v7
	v_addc_co_u32_e32 v8, vcc, v8, v9, vcc
	v_add_u32_e32 v0, 0x400, v0
	v_cmp_le_i32_e32 vcc, s7, v0
	s_or_b64 s[2:3], vcc, s[2:3]
	s_waitcnt vmcnt(0) lgkmcnt(0)
	v_mul_f64 v[14:15], v[5:6], v[12:13]
	v_mul_f64 v[12:13], v[3:4], v[12:13]
	v_fma_f64 v[14:15], v[3:4], v[10:11], -v[14:15]
	v_fma_f64 v[16:17], v[5:6], v[10:11], v[12:13]
	flat_load_dwordx4 v[10:13], v[1:2]
	s_waitcnt vmcnt(0) lgkmcnt(0)
	v_add_f64 v[10:11], v[10:11], v[14:15]
	v_add_f64 v[12:13], v[16:17], v[12:13]
	flat_store_dwordx4 v[1:2], v[10:13]
	v_add_co_u32_e32 v1, vcc, 0x4000, v1
	v_addc_co_u32_e32 v2, vcc, 0, v2, vcc
	s_andn2_b64 exec, exec, s[2:3]
	s_cbranch_execnz .LBB59_3
.LBB59_4:
	s_endpgm
	.section	.rodata,"a",@progbits
	.p2align	6, 0x0
	.amdhsa_kernel _ZL19rocblas_sger_kernelILi1024E19rocblas_complex_numIdES1_PKPKS1_PKPS1_EviiT1_lT2_lllSA_lllT3_lmli
		.amdhsa_group_segment_fixed_size 0
		.amdhsa_private_segment_fixed_size 0
		.amdhsa_kernarg_size 132
		.amdhsa_user_sgpr_count 6
		.amdhsa_user_sgpr_private_segment_buffer 1
		.amdhsa_user_sgpr_dispatch_ptr 0
		.amdhsa_user_sgpr_queue_ptr 0
		.amdhsa_user_sgpr_kernarg_segment_ptr 1
		.amdhsa_user_sgpr_dispatch_id 0
		.amdhsa_user_sgpr_flat_scratch_init 0
		.amdhsa_user_sgpr_private_segment_size 0
		.amdhsa_uses_dynamic_stack 0
		.amdhsa_system_sgpr_private_segment_wavefront_offset 0
		.amdhsa_system_sgpr_workgroup_id_x 1
		.amdhsa_system_sgpr_workgroup_id_y 0
		.amdhsa_system_sgpr_workgroup_id_z 1
		.amdhsa_system_sgpr_workgroup_info 0
		.amdhsa_system_vgpr_workitem_id 0
		.amdhsa_next_free_vgpr 18
		.amdhsa_next_free_sgpr 30
		.amdhsa_reserve_vcc 1
		.amdhsa_reserve_flat_scratch 0
		.amdhsa_float_round_mode_32 0
		.amdhsa_float_round_mode_16_64 0
		.amdhsa_float_denorm_mode_32 3
		.amdhsa_float_denorm_mode_16_64 3
		.amdhsa_dx10_clamp 1
		.amdhsa_ieee_mode 1
		.amdhsa_fp16_overflow 0
		.amdhsa_exception_fp_ieee_invalid_op 0
		.amdhsa_exception_fp_denorm_src 0
		.amdhsa_exception_fp_ieee_div_zero 0
		.amdhsa_exception_fp_ieee_overflow 0
		.amdhsa_exception_fp_ieee_underflow 0
		.amdhsa_exception_fp_ieee_inexact 0
		.amdhsa_exception_int_div_zero 0
	.end_amdhsa_kernel
	.section	.text._ZL19rocblas_sger_kernelILi1024E19rocblas_complex_numIdES1_PKPKS1_PKPS1_EviiT1_lT2_lllSA_lllT3_lmli,"axG",@progbits,_ZL19rocblas_sger_kernelILi1024E19rocblas_complex_numIdES1_PKPKS1_PKPS1_EviiT1_lT2_lllSA_lllT3_lmli,comdat
.Lfunc_end59:
	.size	_ZL19rocblas_sger_kernelILi1024E19rocblas_complex_numIdES1_PKPKS1_PKPS1_EviiT1_lT2_lllSA_lllT3_lmli, .Lfunc_end59-_ZL19rocblas_sger_kernelILi1024E19rocblas_complex_numIdES1_PKPKS1_PKPS1_EviiT1_lT2_lllSA_lllT3_lmli
                                        ; -- End function
	.set _ZL19rocblas_sger_kernelILi1024E19rocblas_complex_numIdES1_PKPKS1_PKPS1_EviiT1_lT2_lllSA_lllT3_lmli.num_vgpr, 18
	.set _ZL19rocblas_sger_kernelILi1024E19rocblas_complex_numIdES1_PKPKS1_PKPS1_EviiT1_lT2_lllSA_lllT3_lmli.num_agpr, 0
	.set _ZL19rocblas_sger_kernelILi1024E19rocblas_complex_numIdES1_PKPKS1_PKPS1_EviiT1_lT2_lllSA_lllT3_lmli.numbered_sgpr, 30
	.set _ZL19rocblas_sger_kernelILi1024E19rocblas_complex_numIdES1_PKPKS1_PKPS1_EviiT1_lT2_lllSA_lllT3_lmli.num_named_barrier, 0
	.set _ZL19rocblas_sger_kernelILi1024E19rocblas_complex_numIdES1_PKPKS1_PKPS1_EviiT1_lT2_lllSA_lllT3_lmli.private_seg_size, 0
	.set _ZL19rocblas_sger_kernelILi1024E19rocblas_complex_numIdES1_PKPKS1_PKPS1_EviiT1_lT2_lllSA_lllT3_lmli.uses_vcc, 1
	.set _ZL19rocblas_sger_kernelILi1024E19rocblas_complex_numIdES1_PKPKS1_PKPS1_EviiT1_lT2_lllSA_lllT3_lmli.uses_flat_scratch, 0
	.set _ZL19rocblas_sger_kernelILi1024E19rocblas_complex_numIdES1_PKPKS1_PKPS1_EviiT1_lT2_lllSA_lllT3_lmli.has_dyn_sized_stack, 0
	.set _ZL19rocblas_sger_kernelILi1024E19rocblas_complex_numIdES1_PKPKS1_PKPS1_EviiT1_lT2_lllSA_lllT3_lmli.has_recursion, 0
	.set _ZL19rocblas_sger_kernelILi1024E19rocblas_complex_numIdES1_PKPKS1_PKPS1_EviiT1_lT2_lllSA_lllT3_lmli.has_indirect_call, 0
	.section	.AMDGPU.csdata,"",@progbits
; Kernel info:
; codeLenInByte = 552
; TotalNumSgprs: 34
; NumVgprs: 18
; ScratchSize: 0
; MemoryBound: 0
; FloatMode: 240
; IeeeMode: 1
; LDSByteSize: 0 bytes/workgroup (compile time only)
; SGPRBlocks: 4
; VGPRBlocks: 4
; NumSGPRsForWavesPerEU: 34
; NumVGPRsForWavesPerEU: 18
; Occupancy: 10
; WaveLimiterHint : 1
; COMPUTE_PGM_RSRC2:SCRATCH_EN: 0
; COMPUTE_PGM_RSRC2:USER_SGPR: 6
; COMPUTE_PGM_RSRC2:TRAP_HANDLER: 0
; COMPUTE_PGM_RSRC2:TGID_X_EN: 1
; COMPUTE_PGM_RSRC2:TGID_Y_EN: 0
; COMPUTE_PGM_RSRC2:TGID_Z_EN: 1
; COMPUTE_PGM_RSRC2:TIDIG_COMP_CNT: 0
	.section	.text._ZL18rocblas_ger_kernelILi32ELi32ELi2ELb0E19rocblas_complex_numIdEPKS1_PKS3_PKPS1_EviiT4_lT5_lllSA_lllT6_lmli,"axG",@progbits,_ZL18rocblas_ger_kernelILi32ELi32ELi2ELb0E19rocblas_complex_numIdEPKS1_PKS3_PKPS1_EviiT4_lT5_lllSA_lllT6_lmli,comdat
	.globl	_ZL18rocblas_ger_kernelILi32ELi32ELi2ELb0E19rocblas_complex_numIdEPKS1_PKS3_PKPS1_EviiT4_lT5_lllSA_lllT6_lmli ; -- Begin function _ZL18rocblas_ger_kernelILi32ELi32ELi2ELb0E19rocblas_complex_numIdEPKS1_PKS3_PKPS1_EviiT4_lT5_lllSA_lllT6_lmli
	.p2align	8
	.type	_ZL18rocblas_ger_kernelILi32ELi32ELi2ELb0E19rocblas_complex_numIdEPKS1_PKS3_PKPS1_EviiT4_lT5_lllSA_lllT6_lmli,@function
_ZL18rocblas_ger_kernelILi32ELi32ELi2ELb0E19rocblas_complex_numIdEPKS1_PKS3_PKPS1_EviiT4_lT5_lllSA_lllT6_lmli: ; @_ZL18rocblas_ger_kernelILi32ELi32ELi2ELb0E19rocblas_complex_numIdEPKS1_PKS3_PKPS1_EviiT4_lT5_lllSA_lllT6_lmli
; %bb.0:
	s_load_dwordx2 s[8:9], s[4:5], 0x0
	s_load_dwordx4 s[0:3], s[4:5], 0x8
	s_mov_b32 s10, s7
	s_waitcnt lgkmcnt(0)
	s_add_i32 s7, s8, -1
	s_ashr_i32 s11, s7, 31
	s_lshr_b32 s11, s11, 27
	s_add_i32 s7, s7, s11
	s_mul_i32 s3, s3, s10
	s_mul_hi_u32 s12, s2, s10
	s_ashr_i32 s11, s7, 5
	s_add_i32 s3, s12, s3
	s_mul_i32 s2, s2, s10
	s_add_i32 s7, s11, 1
	s_lshl_b64 s[2:3], s[2:3], 4
	s_add_u32 s12, s0, s2
	s_addc_u32 s13, s1, s3
	s_load_dwordx4 s[0:3], s[12:13], 0x0
	v_cvt_f32_u32_e32 v2, s7
	s_waitcnt lgkmcnt(0)
	v_cmp_neq_f64_e64 s[12:13], s[0:1], 0
	v_cmp_neq_f64_e64 s[14:15], s[2:3], 0
	v_rcp_iflag_f32_e32 v2, v2
	v_mul_f32_e32 v2, 0x4f7ffffe, v2
	v_cvt_u32_f32_e32 v2, v2
	s_or_b64 s[12:13], s[12:13], s[14:15]
	s_andn2_b64 vcc, exec, s[12:13]
	v_readfirstlane_b32 s12, v2
	s_cbranch_vccnz .LBB60_14
; %bb.1:
	s_not_b32 s11, s11
	s_mul_i32 s11, s11, s12
	s_mul_hi_u32 s11, s12, s11
	s_add_i32 s12, s12, s11
	s_mul_hi_u32 s12, s6, s12
	s_mul_i32 s13, s12, s7
	s_sub_i32 s13, s6, s13
	s_add_i32 s16, s12, 1
	s_sub_i32 s17, s13, s7
	s_cmp_ge_u32 s13, s7
	s_cselect_b32 s12, s16, s12
	s_load_dwordx2 s[14:15], s[4:5], 0x58
	s_load_dwordx2 s[20:21], s[4:5], 0x38
	s_cselect_b32 s13, s17, s13
	s_add_i32 s16, s12, 1
	s_cmp_ge_u32 s13, s7
	s_cselect_b32 s18, s16, s12
	s_mov_b32 s11, 0
	s_mul_i32 s7, s18, s7
	s_sub_i32 s12, s6, s7
	s_lshl_b64 s[16:17], s[10:11], 3
	s_waitcnt lgkmcnt(0)
	s_add_u32 s6, s20, s16
	s_addc_u32 s7, s21, s17
	s_add_u32 s10, s14, s16
	s_addc_u32 s11, s15, s17
	s_load_dwordx2 s[6:7], s[6:7], 0x0
	v_lshl_add_u32 v6, s12, 5, v0
	s_load_dwordx2 s[10:11], s[10:11], 0x0
	v_cmp_eq_u32_e32 vcc, 0, v1
	s_and_saveexec_b64 s[12:13], vcc
	s_cbranch_execz .LBB60_5
; %bb.2:
	v_mov_b32_e32 v2, 0
	v_mov_b32_e32 v4, 0
	;; [unrolled: 1-line block ×4, first 2 shown]
	v_cmp_gt_i32_e32 vcc, s8, v6
	s_and_saveexec_b64 s[14:15], vcc
	s_cbranch_execz .LBB60_4
; %bb.3:
	s_load_dwordx2 s[24:25], s[4:5], 0x18
	s_load_dwordx4 s[20:23], s[4:5], 0x20
	v_ashrrev_i32_e32 v2, 31, v6
	s_waitcnt lgkmcnt(0)
	s_add_u32 s16, s24, s16
	s_addc_u32 s17, s25, s17
	v_mul_lo_u32 v4, s23, v6
	v_mul_lo_u32 v5, s22, v2
	v_mad_u64_u32 v[2:3], s[22:23], s22, v6, 0
	s_load_dwordx2 s[16:17], s[16:17], 0x0
	s_lshl_b64 s[20:21], s[20:21], 4
	v_add3_u32 v3, v3, v5, v4
	v_lshlrev_b64 v[2:3], 4, v[2:3]
	s_waitcnt lgkmcnt(0)
	s_add_u32 s16, s16, s20
	s_addc_u32 s17, s17, s21
	v_mov_b32_e32 v4, s17
	v_add_co_u32_e32 v2, vcc, s16, v2
	v_addc_co_u32_e32 v3, vcc, v4, v3, vcc
	flat_load_dwordx4 v[2:5], v[2:3]
.LBB60_4:
	s_or_b64 exec, exec, s[14:15]
	v_lshlrev_b32_e32 v7, 4, v0
	s_waitcnt vmcnt(0) lgkmcnt(0)
	ds_write_b128 v7, v[2:5] offset:1024
.LBB60_5:
	s_or_b64 exec, exec, s[12:13]
	v_lshlrev_b32_e32 v7, 1, v1
	v_lshl_add_u32 v5, s18, 6, v7
	v_cmp_gt_u32_e32 vcc, 2, v0
	s_and_saveexec_b64 s[12:13], vcc
	s_cbranch_execz .LBB60_9
; %bb.6:
	v_or_b32_e32 v8, v5, v0
	v_mov_b32_e32 v1, 0
	v_mov_b32_e32 v3, 0
	;; [unrolled: 1-line block ×4, first 2 shown]
	v_cmp_gt_u32_e32 vcc, s9, v8
	s_and_saveexec_b64 s[14:15], vcc
	s_cbranch_execz .LBB60_8
; %bb.7:
	s_load_dwordx4 s[16:19], s[4:5], 0x40
	s_waitcnt lgkmcnt(0)
	v_mad_u64_u32 v[1:2], s[20:21], s18, v8, 0
	s_lshl_b64 s[16:17], s[16:17], 4
	s_add_u32 s6, s6, s16
	v_mad_u64_u32 v[2:3], s[18:19], s19, v8, v[2:3]
	s_addc_u32 s7, s7, s17
	v_mov_b32_e32 v3, s7
	v_lshlrev_b64 v[1:2], 4, v[1:2]
	v_add_co_u32_e32 v1, vcc, s6, v1
	v_addc_co_u32_e32 v2, vcc, v3, v2, vcc
	flat_load_dwordx4 v[1:4], v[1:2]
.LBB60_8:
	s_or_b64 exec, exec, s[14:15]
	v_lshlrev_b32_e32 v8, 4, v0
	v_lshl_add_u32 v8, v7, 4, v8
	s_waitcnt vmcnt(0) lgkmcnt(0)
	ds_write_b128 v8, v[1:4]
.LBB60_9:
	s_or_b64 exec, exec, s[12:13]
	v_cmp_gt_i32_e32 vcc, s8, v6
	s_waitcnt lgkmcnt(0)
	s_barrier
	s_and_saveexec_b64 s[6:7], vcc
	s_cbranch_execz .LBB60_14
; %bb.10:
	v_lshlrev_b32_e32 v0, 4, v0
	ds_read_b128 v[8:11], v0 offset:1024
	s_load_dwordx4 s[4:7], s[4:5], 0x60
	v_lshlrev_b32_e32 v4, 4, v7
	v_ashrrev_i32_e32 v7, 31, v6
	v_lshlrev_b64 v[6:7], 4, v[6:7]
	s_waitcnt lgkmcnt(0)
	v_mul_f64 v[0:1], s[2:3], v[10:11]
	v_mul_f64 v[2:3], s[0:1], v[10:11]
	s_lshl_b64 s[4:5], s[4:5], 4
	s_add_u32 s4, s10, s4
	s_addc_u32 s5, s11, s5
	v_add_co_u32_e32 v6, vcc, s4, v6
	v_fma_f64 v[0:1], s[0:1], v[8:9], -v[0:1]
	v_fma_f64 v[2:3], s[2:3], v[8:9], v[2:3]
	v_mov_b32_e32 v8, s5
	v_addc_co_u32_e32 v7, vcc, v8, v7, vcc
	v_cmp_gt_i32_e32 vcc, s9, v5
	s_and_saveexec_b64 s[0:1], vcc
	s_cbranch_execz .LBB60_12
; %bb.11:
	ds_read_b128 v[8:11], v4
	v_ashrrev_i32_e32 v16, 31, v5
	v_mul_lo_u32 v17, s7, v5
	v_mad_u64_u32 v[12:13], s[2:3], s6, v5, 0
	v_mul_lo_u32 v16, s6, v16
	s_waitcnt lgkmcnt(0)
	v_mul_f64 v[14:15], v[2:3], v[10:11]
	v_mul_f64 v[10:11], v[0:1], v[10:11]
	v_add3_u32 v13, v13, v16, v17
	v_lshlrev_b64 v[12:13], 4, v[12:13]
	v_add_co_u32_e32 v12, vcc, v6, v12
	v_addc_co_u32_e32 v13, vcc, v7, v13, vcc
	v_fma_f64 v[14:15], v[0:1], v[8:9], -v[14:15]
	v_fma_f64 v[16:17], v[2:3], v[8:9], v[10:11]
	flat_load_dwordx4 v[8:11], v[12:13]
	s_waitcnt vmcnt(0) lgkmcnt(0)
	v_add_f64 v[8:9], v[8:9], v[14:15]
	v_add_f64 v[10:11], v[16:17], v[10:11]
	flat_store_dwordx4 v[12:13], v[8:11]
.LBB60_12:
	s_or_b64 exec, exec, s[0:1]
	v_or_b32_e32 v5, 1, v5
	v_cmp_gt_i32_e32 vcc, s9, v5
	s_and_b64 exec, exec, vcc
	s_cbranch_execz .LBB60_14
; %bb.13:
	v_ashrrev_i32_e32 v10, 31, v5
	v_mul_lo_u32 v11, s7, v5
	v_mad_u64_u32 v[8:9], s[0:1], s6, v5, 0
	v_mul_lo_u32 v5, s6, v10
	v_add3_u32 v9, v9, v5, v11
	v_lshlrev_b64 v[8:9], 4, v[8:9]
	v_add_co_u32_e32 v13, vcc, v6, v8
	v_addc_co_u32_e32 v14, vcc, v7, v9, vcc
	flat_load_dwordx4 v[5:8], v[13:14]
	ds_read_b128 v[9:12], v4 offset:16
	s_waitcnt lgkmcnt(0)
	v_mul_f64 v[15:16], v[2:3], v[11:12]
	v_mul_f64 v[11:12], v[0:1], v[11:12]
	v_fma_f64 v[0:1], v[0:1], v[9:10], -v[15:16]
	v_fma_f64 v[2:3], v[2:3], v[9:10], v[11:12]
	s_waitcnt vmcnt(0)
	v_add_f64 v[0:1], v[5:6], v[0:1]
	v_add_f64 v[2:3], v[2:3], v[7:8]
	flat_store_dwordx4 v[13:14], v[0:3]
.LBB60_14:
	s_endpgm
	.section	.rodata,"a",@progbits
	.p2align	6, 0x0
	.amdhsa_kernel _ZL18rocblas_ger_kernelILi32ELi32ELi2ELb0E19rocblas_complex_numIdEPKS1_PKS3_PKPS1_EviiT4_lT5_lllSA_lllT6_lmli
		.amdhsa_group_segment_fixed_size 1536
		.amdhsa_private_segment_fixed_size 0
		.amdhsa_kernarg_size 124
		.amdhsa_user_sgpr_count 6
		.amdhsa_user_sgpr_private_segment_buffer 1
		.amdhsa_user_sgpr_dispatch_ptr 0
		.amdhsa_user_sgpr_queue_ptr 0
		.amdhsa_user_sgpr_kernarg_segment_ptr 1
		.amdhsa_user_sgpr_dispatch_id 0
		.amdhsa_user_sgpr_flat_scratch_init 0
		.amdhsa_user_sgpr_private_segment_size 0
		.amdhsa_uses_dynamic_stack 0
		.amdhsa_system_sgpr_private_segment_wavefront_offset 0
		.amdhsa_system_sgpr_workgroup_id_x 1
		.amdhsa_system_sgpr_workgroup_id_y 0
		.amdhsa_system_sgpr_workgroup_id_z 1
		.amdhsa_system_sgpr_workgroup_info 0
		.amdhsa_system_vgpr_workitem_id 1
		.amdhsa_next_free_vgpr 18
		.amdhsa_next_free_sgpr 26
		.amdhsa_reserve_vcc 1
		.amdhsa_reserve_flat_scratch 0
		.amdhsa_float_round_mode_32 0
		.amdhsa_float_round_mode_16_64 0
		.amdhsa_float_denorm_mode_32 3
		.amdhsa_float_denorm_mode_16_64 3
		.amdhsa_dx10_clamp 1
		.amdhsa_ieee_mode 1
		.amdhsa_fp16_overflow 0
		.amdhsa_exception_fp_ieee_invalid_op 0
		.amdhsa_exception_fp_denorm_src 0
		.amdhsa_exception_fp_ieee_div_zero 0
		.amdhsa_exception_fp_ieee_overflow 0
		.amdhsa_exception_fp_ieee_underflow 0
		.amdhsa_exception_fp_ieee_inexact 0
		.amdhsa_exception_int_div_zero 0
	.end_amdhsa_kernel
	.section	.text._ZL18rocblas_ger_kernelILi32ELi32ELi2ELb0E19rocblas_complex_numIdEPKS1_PKS3_PKPS1_EviiT4_lT5_lllSA_lllT6_lmli,"axG",@progbits,_ZL18rocblas_ger_kernelILi32ELi32ELi2ELb0E19rocblas_complex_numIdEPKS1_PKS3_PKPS1_EviiT4_lT5_lllSA_lllT6_lmli,comdat
.Lfunc_end60:
	.size	_ZL18rocblas_ger_kernelILi32ELi32ELi2ELb0E19rocblas_complex_numIdEPKS1_PKS3_PKPS1_EviiT4_lT5_lllSA_lllT6_lmli, .Lfunc_end60-_ZL18rocblas_ger_kernelILi32ELi32ELi2ELb0E19rocblas_complex_numIdEPKS1_PKS3_PKPS1_EviiT4_lT5_lllSA_lllT6_lmli
                                        ; -- End function
	.set _ZL18rocblas_ger_kernelILi32ELi32ELi2ELb0E19rocblas_complex_numIdEPKS1_PKS3_PKPS1_EviiT4_lT5_lllSA_lllT6_lmli.num_vgpr, 18
	.set _ZL18rocblas_ger_kernelILi32ELi32ELi2ELb0E19rocblas_complex_numIdEPKS1_PKS3_PKPS1_EviiT4_lT5_lllSA_lllT6_lmli.num_agpr, 0
	.set _ZL18rocblas_ger_kernelILi32ELi32ELi2ELb0E19rocblas_complex_numIdEPKS1_PKS3_PKPS1_EviiT4_lT5_lllSA_lllT6_lmli.numbered_sgpr, 26
	.set _ZL18rocblas_ger_kernelILi32ELi32ELi2ELb0E19rocblas_complex_numIdEPKS1_PKS3_PKPS1_EviiT4_lT5_lllSA_lllT6_lmli.num_named_barrier, 0
	.set _ZL18rocblas_ger_kernelILi32ELi32ELi2ELb0E19rocblas_complex_numIdEPKS1_PKS3_PKPS1_EviiT4_lT5_lllSA_lllT6_lmli.private_seg_size, 0
	.set _ZL18rocblas_ger_kernelILi32ELi32ELi2ELb0E19rocblas_complex_numIdEPKS1_PKS3_PKPS1_EviiT4_lT5_lllSA_lllT6_lmli.uses_vcc, 1
	.set _ZL18rocblas_ger_kernelILi32ELi32ELi2ELb0E19rocblas_complex_numIdEPKS1_PKS3_PKPS1_EviiT4_lT5_lllSA_lllT6_lmli.uses_flat_scratch, 0
	.set _ZL18rocblas_ger_kernelILi32ELi32ELi2ELb0E19rocblas_complex_numIdEPKS1_PKS3_PKPS1_EviiT4_lT5_lllSA_lllT6_lmli.has_dyn_sized_stack, 0
	.set _ZL18rocblas_ger_kernelILi32ELi32ELi2ELb0E19rocblas_complex_numIdEPKS1_PKS3_PKPS1_EviiT4_lT5_lllSA_lllT6_lmli.has_recursion, 0
	.set _ZL18rocblas_ger_kernelILi32ELi32ELi2ELb0E19rocblas_complex_numIdEPKS1_PKS3_PKPS1_EviiT4_lT5_lllSA_lllT6_lmli.has_indirect_call, 0
	.section	.AMDGPU.csdata,"",@progbits
; Kernel info:
; codeLenInByte = 1028
; TotalNumSgprs: 30
; NumVgprs: 18
; ScratchSize: 0
; MemoryBound: 0
; FloatMode: 240
; IeeeMode: 1
; LDSByteSize: 1536 bytes/workgroup (compile time only)
; SGPRBlocks: 3
; VGPRBlocks: 4
; NumSGPRsForWavesPerEU: 30
; NumVGPRsForWavesPerEU: 18
; Occupancy: 10
; WaveLimiterHint : 1
; COMPUTE_PGM_RSRC2:SCRATCH_EN: 0
; COMPUTE_PGM_RSRC2:USER_SGPR: 6
; COMPUTE_PGM_RSRC2:TRAP_HANDLER: 0
; COMPUTE_PGM_RSRC2:TGID_X_EN: 1
; COMPUTE_PGM_RSRC2:TGID_Y_EN: 0
; COMPUTE_PGM_RSRC2:TGID_Z_EN: 1
; COMPUTE_PGM_RSRC2:TIDIG_COMP_CNT: 1
	.section	.text._ZL18rocblas_ger_kernelILi32ELi32ELi2ELb0E19rocblas_complex_numIdES1_PKPKS1_PKPS1_EviiT4_lT5_lllSA_lllT6_lmli,"axG",@progbits,_ZL18rocblas_ger_kernelILi32ELi32ELi2ELb0E19rocblas_complex_numIdES1_PKPKS1_PKPS1_EviiT4_lT5_lllSA_lllT6_lmli,comdat
	.globl	_ZL18rocblas_ger_kernelILi32ELi32ELi2ELb0E19rocblas_complex_numIdES1_PKPKS1_PKPS1_EviiT4_lT5_lllSA_lllT6_lmli ; -- Begin function _ZL18rocblas_ger_kernelILi32ELi32ELi2ELb0E19rocblas_complex_numIdES1_PKPKS1_PKPS1_EviiT4_lT5_lllSA_lllT6_lmli
	.p2align	8
	.type	_ZL18rocblas_ger_kernelILi32ELi32ELi2ELb0E19rocblas_complex_numIdES1_PKPKS1_PKPS1_EviiT4_lT5_lllSA_lllT6_lmli,@function
_ZL18rocblas_ger_kernelILi32ELi32ELi2ELb0E19rocblas_complex_numIdES1_PKPKS1_PKPS1_EviiT4_lT5_lllSA_lllT6_lmli: ; @_ZL18rocblas_ger_kernelILi32ELi32ELi2ELb0E19rocblas_complex_numIdES1_PKPKS1_PKPS1_EviiT4_lT5_lllSA_lllT6_lmli
; %bb.0:
	s_load_dwordx2 s[12:13], s[4:5], 0x0
	s_load_dwordx4 s[0:3], s[4:5], 0x8
	s_mov_b32 s8, s7
	s_waitcnt lgkmcnt(0)
	s_add_i32 s7, s12, -1
	s_ashr_i32 s9, s7, 31
	s_lshr_b32 s9, s9, 27
	s_add_i32 s7, s7, s9
	s_ashr_i32 s9, s7, 5
	s_add_i32 s7, s9, 1
	v_cvt_f32_u32_e32 v2, s7
	v_cmp_neq_f64_e64 s[10:11], s[0:1], 0
	v_cmp_neq_f64_e64 s[14:15], s[2:3], 0
	v_rcp_iflag_f32_e32 v2, v2
	v_mul_f32_e32 v2, 0x4f7ffffe, v2
	v_cvt_u32_f32_e32 v2, v2
	s_or_b64 s[10:11], s[10:11], s[14:15]
	s_andn2_b64 vcc, exec, s[10:11]
	v_readfirstlane_b32 s10, v2
	s_cbranch_vccnz .LBB61_14
; %bb.1:
	s_not_b32 s9, s9
	s_mul_i32 s9, s9, s10
	s_mul_hi_u32 s9, s10, s9
	s_add_i32 s10, s10, s9
	s_mul_hi_u32 s9, s6, s10
	s_mul_i32 s10, s9, s7
	s_sub_i32 s10, s6, s10
	s_add_i32 s11, s9, 1
	s_sub_i32 s16, s10, s7
	s_cmp_ge_u32 s10, s7
	s_cselect_b32 s9, s11, s9
	s_load_dwordx2 s[14:15], s[4:5], 0x60
	s_load_dwordx2 s[20:21], s[4:5], 0x40
	s_cselect_b32 s10, s16, s10
	s_add_i32 s11, s9, 1
	s_cmp_ge_u32 s10, s7
	s_cselect_b32 s18, s11, s9
	s_mul_i32 s7, s18, s7
	s_mov_b32 s9, 0
	s_sub_i32 s10, s6, s7
	s_lshl_b64 s[16:17], s[8:9], 3
	s_waitcnt lgkmcnt(0)
	s_add_u32 s6, s20, s16
	s_addc_u32 s7, s21, s17
	s_load_dwordx2 s[8:9], s[6:7], 0x0
	s_add_u32 s6, s14, s16
	s_addc_u32 s7, s15, s17
	s_load_dwordx2 s[6:7], s[6:7], 0x0
	v_lshl_add_u32 v6, s10, 5, v0
	v_cmp_eq_u32_e32 vcc, 0, v1
	s_and_saveexec_b64 s[10:11], vcc
	s_cbranch_execz .LBB61_5
; %bb.2:
	v_mov_b32_e32 v2, 0
	v_mov_b32_e32 v4, 0
	;; [unrolled: 1-line block ×4, first 2 shown]
	v_cmp_gt_i32_e32 vcc, s12, v6
	s_and_saveexec_b64 s[14:15], vcc
	s_cbranch_execz .LBB61_4
; %bb.3:
	s_load_dwordx2 s[24:25], s[4:5], 0x20
	s_load_dwordx4 s[20:23], s[4:5], 0x28
	v_ashrrev_i32_e32 v2, 31, v6
	s_waitcnt lgkmcnt(0)
	s_add_u32 s16, s24, s16
	s_addc_u32 s17, s25, s17
	v_mul_lo_u32 v4, s23, v6
	v_mul_lo_u32 v5, s22, v2
	v_mad_u64_u32 v[2:3], s[22:23], s22, v6, 0
	s_load_dwordx2 s[16:17], s[16:17], 0x0
	s_lshl_b64 s[20:21], s[20:21], 4
	v_add3_u32 v3, v3, v5, v4
	v_lshlrev_b64 v[2:3], 4, v[2:3]
	s_waitcnt lgkmcnt(0)
	s_add_u32 s16, s16, s20
	s_addc_u32 s17, s17, s21
	v_mov_b32_e32 v4, s17
	v_add_co_u32_e32 v2, vcc, s16, v2
	v_addc_co_u32_e32 v3, vcc, v4, v3, vcc
	flat_load_dwordx4 v[2:5], v[2:3]
.LBB61_4:
	s_or_b64 exec, exec, s[14:15]
	v_lshlrev_b32_e32 v7, 4, v0
	s_waitcnt vmcnt(0) lgkmcnt(0)
	ds_write_b128 v7, v[2:5] offset:1024
.LBB61_5:
	s_or_b64 exec, exec, s[10:11]
	v_lshlrev_b32_e32 v7, 1, v1
	v_lshl_add_u32 v5, s18, 6, v7
	v_cmp_gt_u32_e32 vcc, 2, v0
	s_and_saveexec_b64 s[10:11], vcc
	s_cbranch_execz .LBB61_9
; %bb.6:
	v_or_b32_e32 v8, v5, v0
	v_mov_b32_e32 v1, 0
	v_mov_b32_e32 v3, 0
	v_mov_b32_e32 v2, 0
	v_mov_b32_e32 v4, 0
	v_cmp_gt_u32_e32 vcc, s13, v8
	s_and_saveexec_b64 s[14:15], vcc
	s_cbranch_execz .LBB61_8
; %bb.7:
	s_load_dwordx4 s[16:19], s[4:5], 0x48
	s_waitcnt lgkmcnt(0)
	v_mad_u64_u32 v[1:2], s[20:21], s18, v8, 0
	s_lshl_b64 s[16:17], s[16:17], 4
	s_add_u32 s8, s8, s16
	v_mad_u64_u32 v[2:3], s[18:19], s19, v8, v[2:3]
	s_addc_u32 s9, s9, s17
	v_mov_b32_e32 v3, s9
	v_lshlrev_b64 v[1:2], 4, v[1:2]
	v_add_co_u32_e32 v1, vcc, s8, v1
	v_addc_co_u32_e32 v2, vcc, v3, v2, vcc
	flat_load_dwordx4 v[1:4], v[1:2]
.LBB61_8:
	s_or_b64 exec, exec, s[14:15]
	v_lshlrev_b32_e32 v8, 4, v0
	v_lshl_add_u32 v8, v7, 4, v8
	s_waitcnt vmcnt(0) lgkmcnt(0)
	ds_write_b128 v8, v[1:4]
.LBB61_9:
	s_or_b64 exec, exec, s[10:11]
	v_cmp_gt_i32_e32 vcc, s12, v6
	s_waitcnt lgkmcnt(0)
	s_barrier
	s_and_saveexec_b64 s[8:9], vcc
	s_cbranch_execz .LBB61_14
; %bb.10:
	v_lshlrev_b32_e32 v0, 4, v0
	ds_read_b128 v[8:11], v0 offset:1024
	s_load_dwordx4 s[8:11], s[4:5], 0x68
	v_lshlrev_b32_e32 v4, 4, v7
	v_ashrrev_i32_e32 v7, 31, v6
	v_lshlrev_b64 v[6:7], 4, v[6:7]
	s_waitcnt lgkmcnt(0)
	v_mul_f64 v[0:1], s[2:3], v[10:11]
	v_mul_f64 v[2:3], s[0:1], v[10:11]
	s_lshl_b64 s[4:5], s[8:9], 4
	s_add_u32 s4, s6, s4
	s_addc_u32 s5, s7, s5
	v_add_co_u32_e32 v6, vcc, s4, v6
	v_fma_f64 v[0:1], s[0:1], v[8:9], -v[0:1]
	v_fma_f64 v[2:3], s[2:3], v[8:9], v[2:3]
	v_mov_b32_e32 v8, s5
	v_addc_co_u32_e32 v7, vcc, v8, v7, vcc
	v_cmp_gt_i32_e32 vcc, s13, v5
	s_and_saveexec_b64 s[0:1], vcc
	s_cbranch_execz .LBB61_12
; %bb.11:
	ds_read_b128 v[8:11], v4
	v_ashrrev_i32_e32 v16, 31, v5
	v_mul_lo_u32 v17, s11, v5
	v_mad_u64_u32 v[12:13], s[2:3], s10, v5, 0
	v_mul_lo_u32 v16, s10, v16
	s_waitcnt lgkmcnt(0)
	v_mul_f64 v[14:15], v[2:3], v[10:11]
	v_mul_f64 v[10:11], v[0:1], v[10:11]
	v_add3_u32 v13, v13, v16, v17
	v_lshlrev_b64 v[12:13], 4, v[12:13]
	v_add_co_u32_e32 v12, vcc, v6, v12
	v_addc_co_u32_e32 v13, vcc, v7, v13, vcc
	v_fma_f64 v[14:15], v[0:1], v[8:9], -v[14:15]
	v_fma_f64 v[16:17], v[2:3], v[8:9], v[10:11]
	flat_load_dwordx4 v[8:11], v[12:13]
	s_waitcnt vmcnt(0) lgkmcnt(0)
	v_add_f64 v[8:9], v[8:9], v[14:15]
	v_add_f64 v[10:11], v[16:17], v[10:11]
	flat_store_dwordx4 v[12:13], v[8:11]
.LBB61_12:
	s_or_b64 exec, exec, s[0:1]
	v_or_b32_e32 v5, 1, v5
	v_cmp_gt_i32_e32 vcc, s13, v5
	s_and_b64 exec, exec, vcc
	s_cbranch_execz .LBB61_14
; %bb.13:
	v_ashrrev_i32_e32 v10, 31, v5
	v_mul_lo_u32 v11, s11, v5
	v_mad_u64_u32 v[8:9], s[0:1], s10, v5, 0
	v_mul_lo_u32 v5, s10, v10
	v_add3_u32 v9, v9, v5, v11
	v_lshlrev_b64 v[8:9], 4, v[8:9]
	v_add_co_u32_e32 v13, vcc, v6, v8
	v_addc_co_u32_e32 v14, vcc, v7, v9, vcc
	flat_load_dwordx4 v[5:8], v[13:14]
	ds_read_b128 v[9:12], v4 offset:16
	s_waitcnt lgkmcnt(0)
	v_mul_f64 v[15:16], v[2:3], v[11:12]
	v_mul_f64 v[11:12], v[0:1], v[11:12]
	v_fma_f64 v[0:1], v[0:1], v[9:10], -v[15:16]
	v_fma_f64 v[2:3], v[2:3], v[9:10], v[11:12]
	s_waitcnt vmcnt(0)
	v_add_f64 v[0:1], v[5:6], v[0:1]
	v_add_f64 v[2:3], v[2:3], v[7:8]
	flat_store_dwordx4 v[13:14], v[0:3]
.LBB61_14:
	s_endpgm
	.section	.rodata,"a",@progbits
	.p2align	6, 0x0
	.amdhsa_kernel _ZL18rocblas_ger_kernelILi32ELi32ELi2ELb0E19rocblas_complex_numIdES1_PKPKS1_PKPS1_EviiT4_lT5_lllSA_lllT6_lmli
		.amdhsa_group_segment_fixed_size 1536
		.amdhsa_private_segment_fixed_size 0
		.amdhsa_kernarg_size 132
		.amdhsa_user_sgpr_count 6
		.amdhsa_user_sgpr_private_segment_buffer 1
		.amdhsa_user_sgpr_dispatch_ptr 0
		.amdhsa_user_sgpr_queue_ptr 0
		.amdhsa_user_sgpr_kernarg_segment_ptr 1
		.amdhsa_user_sgpr_dispatch_id 0
		.amdhsa_user_sgpr_flat_scratch_init 0
		.amdhsa_user_sgpr_private_segment_size 0
		.amdhsa_uses_dynamic_stack 0
		.amdhsa_system_sgpr_private_segment_wavefront_offset 0
		.amdhsa_system_sgpr_workgroup_id_x 1
		.amdhsa_system_sgpr_workgroup_id_y 0
		.amdhsa_system_sgpr_workgroup_id_z 1
		.amdhsa_system_sgpr_workgroup_info 0
		.amdhsa_system_vgpr_workitem_id 1
		.amdhsa_next_free_vgpr 18
		.amdhsa_next_free_sgpr 26
		.amdhsa_reserve_vcc 1
		.amdhsa_reserve_flat_scratch 0
		.amdhsa_float_round_mode_32 0
		.amdhsa_float_round_mode_16_64 0
		.amdhsa_float_denorm_mode_32 3
		.amdhsa_float_denorm_mode_16_64 3
		.amdhsa_dx10_clamp 1
		.amdhsa_ieee_mode 1
		.amdhsa_fp16_overflow 0
		.amdhsa_exception_fp_ieee_invalid_op 0
		.amdhsa_exception_fp_denorm_src 0
		.amdhsa_exception_fp_ieee_div_zero 0
		.amdhsa_exception_fp_ieee_overflow 0
		.amdhsa_exception_fp_ieee_underflow 0
		.amdhsa_exception_fp_ieee_inexact 0
		.amdhsa_exception_int_div_zero 0
	.end_amdhsa_kernel
	.section	.text._ZL18rocblas_ger_kernelILi32ELi32ELi2ELb0E19rocblas_complex_numIdES1_PKPKS1_PKPS1_EviiT4_lT5_lllSA_lllT6_lmli,"axG",@progbits,_ZL18rocblas_ger_kernelILi32ELi32ELi2ELb0E19rocblas_complex_numIdES1_PKPKS1_PKPS1_EviiT4_lT5_lllSA_lllT6_lmli,comdat
.Lfunc_end61:
	.size	_ZL18rocblas_ger_kernelILi32ELi32ELi2ELb0E19rocblas_complex_numIdES1_PKPKS1_PKPS1_EviiT4_lT5_lllSA_lllT6_lmli, .Lfunc_end61-_ZL18rocblas_ger_kernelILi32ELi32ELi2ELb0E19rocblas_complex_numIdES1_PKPKS1_PKPS1_EviiT4_lT5_lllSA_lllT6_lmli
                                        ; -- End function
	.set _ZL18rocblas_ger_kernelILi32ELi32ELi2ELb0E19rocblas_complex_numIdES1_PKPKS1_PKPS1_EviiT4_lT5_lllSA_lllT6_lmli.num_vgpr, 18
	.set _ZL18rocblas_ger_kernelILi32ELi32ELi2ELb0E19rocblas_complex_numIdES1_PKPKS1_PKPS1_EviiT4_lT5_lllSA_lllT6_lmli.num_agpr, 0
	.set _ZL18rocblas_ger_kernelILi32ELi32ELi2ELb0E19rocblas_complex_numIdES1_PKPKS1_PKPS1_EviiT4_lT5_lllSA_lllT6_lmli.numbered_sgpr, 26
	.set _ZL18rocblas_ger_kernelILi32ELi32ELi2ELb0E19rocblas_complex_numIdES1_PKPKS1_PKPS1_EviiT4_lT5_lllSA_lllT6_lmli.num_named_barrier, 0
	.set _ZL18rocblas_ger_kernelILi32ELi32ELi2ELb0E19rocblas_complex_numIdES1_PKPKS1_PKPS1_EviiT4_lT5_lllSA_lllT6_lmli.private_seg_size, 0
	.set _ZL18rocblas_ger_kernelILi32ELi32ELi2ELb0E19rocblas_complex_numIdES1_PKPKS1_PKPS1_EviiT4_lT5_lllSA_lllT6_lmli.uses_vcc, 1
	.set _ZL18rocblas_ger_kernelILi32ELi32ELi2ELb0E19rocblas_complex_numIdES1_PKPKS1_PKPS1_EviiT4_lT5_lllSA_lllT6_lmli.uses_flat_scratch, 0
	.set _ZL18rocblas_ger_kernelILi32ELi32ELi2ELb0E19rocblas_complex_numIdES1_PKPKS1_PKPS1_EviiT4_lT5_lllSA_lllT6_lmli.has_dyn_sized_stack, 0
	.set _ZL18rocblas_ger_kernelILi32ELi32ELi2ELb0E19rocblas_complex_numIdES1_PKPKS1_PKPS1_EviiT4_lT5_lllSA_lllT6_lmli.has_recursion, 0
	.set _ZL18rocblas_ger_kernelILi32ELi32ELi2ELb0E19rocblas_complex_numIdES1_PKPKS1_PKPS1_EviiT4_lT5_lllSA_lllT6_lmli.has_indirect_call, 0
	.section	.AMDGPU.csdata,"",@progbits
; Kernel info:
; codeLenInByte = 988
; TotalNumSgprs: 30
; NumVgprs: 18
; ScratchSize: 0
; MemoryBound: 0
; FloatMode: 240
; IeeeMode: 1
; LDSByteSize: 1536 bytes/workgroup (compile time only)
; SGPRBlocks: 3
; VGPRBlocks: 4
; NumSGPRsForWavesPerEU: 30
; NumVGPRsForWavesPerEU: 18
; Occupancy: 10
; WaveLimiterHint : 1
; COMPUTE_PGM_RSRC2:SCRATCH_EN: 0
; COMPUTE_PGM_RSRC2:USER_SGPR: 6
; COMPUTE_PGM_RSRC2:TRAP_HANDLER: 0
; COMPUTE_PGM_RSRC2:TGID_X_EN: 1
; COMPUTE_PGM_RSRC2:TGID_Y_EN: 0
; COMPUTE_PGM_RSRC2:TGID_Z_EN: 1
; COMPUTE_PGM_RSRC2:TIDIG_COMP_CNT: 1
	.section	.text._ZL34rocblas_ger_double_buffered_kernelILb1ELi64ELi16ELi2E19rocblas_complex_numIfE24rocblas_internal_val_ptrIS1_EPKPKS1_PKPS1_EvbiiT4_lT5_lllSC_lllT6_lmli,"axG",@progbits,_ZL34rocblas_ger_double_buffered_kernelILb1ELi64ELi16ELi2E19rocblas_complex_numIfE24rocblas_internal_val_ptrIS1_EPKPKS1_PKPS1_EvbiiT4_lT5_lllSC_lllT6_lmli,comdat
	.globl	_ZL34rocblas_ger_double_buffered_kernelILb1ELi64ELi16ELi2E19rocblas_complex_numIfE24rocblas_internal_val_ptrIS1_EPKPKS1_PKPS1_EvbiiT4_lT5_lllSC_lllT6_lmli ; -- Begin function _ZL34rocblas_ger_double_buffered_kernelILb1ELi64ELi16ELi2E19rocblas_complex_numIfE24rocblas_internal_val_ptrIS1_EPKPKS1_PKPS1_EvbiiT4_lT5_lllSC_lllT6_lmli
	.p2align	8
	.type	_ZL34rocblas_ger_double_buffered_kernelILb1ELi64ELi16ELi2E19rocblas_complex_numIfE24rocblas_internal_val_ptrIS1_EPKPKS1_PKPS1_EvbiiT4_lT5_lllSC_lllT6_lmli,@function
_ZL34rocblas_ger_double_buffered_kernelILb1ELi64ELi16ELi2E19rocblas_complex_numIfE24rocblas_internal_val_ptrIS1_EPKPKS1_PKPS1_EvbiiT4_lT5_lllSC_lllT6_lmli: ; @_ZL34rocblas_ger_double_buffered_kernelILb1ELi64ELi16ELi2E19rocblas_complex_numIfE24rocblas_internal_val_ptrIS1_EPKPKS1_PKPS1_EvbiiT4_lT5_lllSC_lllT6_lmli
; %bb.0:
	s_load_dword s9, s[4:5], 0x0
	s_load_dwordx4 s[0:3], s[4:5], 0x10
	s_waitcnt lgkmcnt(0)
	s_bitcmp0_b32 s9, 0
	s_mov_b32 s9, 0
	s_cbranch_scc0 .LBB62_2
; %bb.1:
	s_mul_i32 s3, s3, s8
	s_mul_hi_u32 s10, s2, s8
	s_add_i32 s3, s10, s3
	s_mul_i32 s2, s2, s8
	s_lshl_b64 s[2:3], s[2:3], 3
	s_add_u32 s2, s0, s2
	s_addc_u32 s3, s1, s3
	s_load_dwordx2 s[16:17], s[2:3], 0x0
	s_cbranch_execz .LBB62_3
	s_branch .LBB62_4
.LBB62_2:
                                        ; implicit-def: $sgpr16
.LBB62_3:
	s_waitcnt lgkmcnt(0)
	s_mov_b32 s17, s1
	s_mov_b32 s16, s0
.LBB62_4:
	s_waitcnt lgkmcnt(0)
	v_cmp_neq_f32_e64 s[0:1], s16, 0
	v_cmp_neq_f32_e64 s[2:3], s17, 0
	s_or_b64 s[0:1], s[0:1], s[2:3]
	s_andn2_b64 vcc, exec, s[0:1]
	s_cbranch_vccnz .LBB62_6
; %bb.5:
	s_load_dwordx2 s[0:1], s[4:5], 0x60
	s_load_dwordx4 s[12:15], s[4:5], 0x68
	s_lshl_b64 s[18:19], s[8:9], 3
	v_lshl_add_u32 v1, v1, 6, v0
	v_lshrrev_b32_e32 v10, 4, v1
	s_waitcnt lgkmcnt(0)
	s_add_u32 s0, s0, s18
	s_addc_u32 s1, s1, s19
	s_load_dwordx2 s[2:3], s[0:1], 0x0
	s_load_dwordx2 s[20:21], s[4:5], 0x40
	s_load_dwordx4 s[8:11], s[4:5], 0x48
	s_lshl_b64 s[0:1], s[12:13], 3
	v_and_b32_e32 v0, 31, v0
	s_waitcnt lgkmcnt(0)
	s_add_u32 s24, s2, s0
	s_addc_u32 s25, s3, s1
	s_add_u32 s12, s20, s18
	s_addc_u32 s13, s21, s19
	s_load_dwordx2 s[20:21], s[12:13], 0x0
	s_load_dwordx2 s[22:23], s[4:5], 0x20
	s_load_dwordx4 s[0:3], s[4:5], 0x28
	s_lshl_b64 s[4:5], s[8:9], 3
	v_and_b32_e32 v9, 0x1ffe, v10
	s_waitcnt lgkmcnt(0)
	s_add_u32 s8, s20, s4
	s_addc_u32 s9, s21, s5
	s_add_u32 s4, s22, s18
	s_addc_u32 s5, s23, s19
	s_load_dwordx2 s[4:5], s[4:5], 0x0
	s_lshl_b64 s[0:1], s[0:1], 3
	v_or_b32_e32 v11, 1, v10
	v_or_b32_e32 v13, 32, v0
	s_waitcnt lgkmcnt(0)
	s_add_u32 s12, s4, s0
	s_addc_u32 s13, s5, s1
	s_lshl_b32 s0, s6, 6
	s_ashr_i32 s1, s0, 31
	s_lshl_b64 s[4:5], s[0:1], 3
	s_add_u32 s6, s24, s4
	s_addc_u32 s18, s25, s5
	s_lshl_b32 s7, s7, 6
	s_ashr_i32 s19, s7, 31
	s_mul_hi_u32 s5, s14, s7
	s_mul_i32 s21, s14, s19
	s_mul_i32 s20, s15, s7
	s_add_i32 s5, s5, s21
	s_mul_i32 s4, s14, s7
	s_add_i32 s5, s5, s20
	s_lshl_b64 s[4:5], s[4:5], 3
	s_add_u32 s4, s6, s4
	s_mul_i32 s1, s2, s1
	s_mul_hi_u32 s6, s2, s0
	s_addc_u32 s5, s18, s5
	s_add_i32 s1, s6, s1
	s_mul_i32 s6, s3, s0
	s_add_i32 s1, s1, s6
	s_mul_i32 s0, s2, s0
	s_lshl_b64 s[0:1], s[0:1], 3
	s_add_u32 s12, s12, s0
	s_addc_u32 s13, s13, s1
	s_mul_i32 s0, s10, s19
	s_mul_hi_u32 s1, s10, s7
	s_add_i32 s6, s1, s0
	v_mad_u64_u32 v[1:2], s[0:1], s14, v9, 0
	v_mad_u64_u32 v[3:4], s[0:1], s2, v0, 0
	s_mul_i32 s18, s11, s7
	v_mad_u64_u32 v[5:6], s[0:1], s15, v9, v[2:3]
	v_mov_b32_e32 v2, v4
	v_mad_u64_u32 v[6:7], s[0:1], s3, v0, v[2:3]
	v_mov_b32_e32 v2, v5
	s_add_i32 s1, s6, s18
	v_mov_b32_e32 v4, v6
	v_lshlrev_b64 v[3:4], 3, v[3:4]
	s_mul_i32 s0, s10, s7
	v_mov_b32_e32 v5, s13
	v_add_co_u32_e32 v3, vcc, s12, v3
	v_lshlrev_b64 v[1:2], 3, v[1:2]
	v_mad_u64_u32 v[7:8], s[6:7], s10, v9, 0
	v_addc_co_u32_e32 v4, vcc, v5, v4, vcc
	v_mov_b32_e32 v5, s5
	v_add_co_u32_e32 v1, vcc, s4, v1
	s_lshl_b64 s[4:5], s[14:15], 3
	s_lshl_b64 s[0:1], s[0:1], 3
	s_add_u32 s6, s8, s0
	s_addc_u32 s7, s9, s1
	v_mad_u64_u32 v[8:9], s[0:1], s11, v9, v[8:9]
	v_addc_co_u32_e32 v2, vcc, v5, v2, vcc
	v_lshlrev_b32_e32 v5, 3, v0
	v_add_co_u32_e32 v1, vcc, v1, v5
	v_lshlrev_b64 v[7:8], 3, v[7:8]
	v_addc_co_u32_e32 v2, vcc, 0, v2, vcc
	flat_load_dwordx2 v[3:4], v[3:4]
	v_mov_b32_e32 v12, s7
	v_add_co_u32_e32 v7, vcc, s6, v7
	v_addc_co_u32_e32 v8, vcc, v12, v8, vcc
	flat_load_dwordx2 v[7:8], v[7:8]
	v_mad_u64_u32 v[9:10], s[0:1], s10, v11, 0
	flat_load_dwordx2 v[5:6], v[1:2]
	v_mov_b32_e32 v14, s5
	v_mad_u64_u32 v[10:11], s[0:1], s11, v11, v[10:11]
	v_mov_b32_e32 v11, s7
	v_lshlrev_b64 v[9:10], 3, v[9:10]
	v_add_co_u32_e32 v9, vcc, s6, v9
	v_addc_co_u32_e32 v10, vcc, v11, v10, vcc
	v_mad_u64_u32 v[11:12], s[0:1], s2, v13, 0
	flat_load_dwordx2 v[9:10], v[9:10]
	v_mov_b32_e32 v0, v12
	v_mad_u64_u32 v[12:13], s[0:1], s3, v13, v[0:1]
	v_mov_b32_e32 v0, s13
	v_lshlrev_b64 v[11:12], 3, v[11:12]
	v_add_co_u32_e32 v11, vcc, s12, v11
	v_addc_co_u32_e32 v12, vcc, v0, v12, vcc
	v_add_co_u32_e32 v13, vcc, s4, v1
	v_addc_co_u32_e32 v14, vcc, v2, v14, vcc
	flat_load_dwordx2 v[11:12], v[11:12]
	s_nop 0
	flat_load_dwordx2 v[15:16], v[13:14] offset:256
	flat_load_dwordx2 v[17:18], v[1:2] offset:256
	s_waitcnt vmcnt(0) lgkmcnt(0)
	v_mul_f32_e32 v0, s17, v4
	v_mul_f32_e32 v19, s16, v4
	v_fma_f32 v0, s16, v3, -v0
	v_fmac_f32_e32 v19, s17, v3
	v_mul_f32_e32 v3, v19, v8
	v_mul_f32_e32 v4, v0, v8
	v_fmac_f32_e32 v3, v0, v7
	v_fma_f32 v4, v19, v7, -v4
	v_add_f32_e32 v3, v5, v3
	v_add_f32_e32 v4, v4, v6
	flat_load_dwordx2 v[5:6], v[13:14]
	v_mul_f32_e32 v20, v19, v10
	v_fmac_f32_e32 v20, v0, v9
	v_mul_f32_e32 v0, v0, v10
	v_fma_f32 v0, v19, v9, -v0
	s_waitcnt vmcnt(0) lgkmcnt(0)
	v_add_f32_e32 v6, v0, v6
	v_mul_f32_e32 v0, s17, v12
	v_mul_f32_e32 v12, s16, v12
	v_add_f32_e32 v5, v5, v20
	v_fma_f32 v0, s16, v11, -v0
	v_fmac_f32_e32 v12, s17, v11
	flat_store_dwordx2 v[1:2], v[3:4]
	flat_store_dwordx2 v[13:14], v[5:6]
	v_mul_f32_e32 v3, v12, v8
	v_mul_f32_e32 v4, v0, v8
	;; [unrolled: 1-line block ×3, first 2 shown]
	v_fmac_f32_e32 v3, v0, v7
	v_fma_f32 v4, v12, v7, -v4
	v_fmac_f32_e32 v5, v0, v9
	v_mul_f32_e32 v0, v0, v10
	v_add_f32_e32 v3, v17, v3
	v_add_f32_e32 v4, v4, v18
	v_fma_f32 v0, v12, v9, -v0
	v_add_f32_e32 v5, v15, v5
	v_add_f32_e32 v6, v0, v16
	flat_store_dwordx2 v[1:2], v[3:4] offset:256
	flat_store_dwordx2 v[13:14], v[5:6] offset:256
.LBB62_6:
	s_endpgm
	.section	.rodata,"a",@progbits
	.p2align	6, 0x0
	.amdhsa_kernel _ZL34rocblas_ger_double_buffered_kernelILb1ELi64ELi16ELi2E19rocblas_complex_numIfE24rocblas_internal_val_ptrIS1_EPKPKS1_PKPS1_EvbiiT4_lT5_lllSC_lllT6_lmli
		.amdhsa_group_segment_fixed_size 0
		.amdhsa_private_segment_fixed_size 0
		.amdhsa_kernarg_size 132
		.amdhsa_user_sgpr_count 6
		.amdhsa_user_sgpr_private_segment_buffer 1
		.amdhsa_user_sgpr_dispatch_ptr 0
		.amdhsa_user_sgpr_queue_ptr 0
		.amdhsa_user_sgpr_kernarg_segment_ptr 1
		.amdhsa_user_sgpr_dispatch_id 0
		.amdhsa_user_sgpr_flat_scratch_init 0
		.amdhsa_user_sgpr_private_segment_size 0
		.amdhsa_uses_dynamic_stack 0
		.amdhsa_system_sgpr_private_segment_wavefront_offset 0
		.amdhsa_system_sgpr_workgroup_id_x 1
		.amdhsa_system_sgpr_workgroup_id_y 1
		.amdhsa_system_sgpr_workgroup_id_z 1
		.amdhsa_system_sgpr_workgroup_info 0
		.amdhsa_system_vgpr_workitem_id 1
		.amdhsa_next_free_vgpr 21
		.amdhsa_next_free_sgpr 26
		.amdhsa_reserve_vcc 1
		.amdhsa_reserve_flat_scratch 0
		.amdhsa_float_round_mode_32 0
		.amdhsa_float_round_mode_16_64 0
		.amdhsa_float_denorm_mode_32 3
		.amdhsa_float_denorm_mode_16_64 3
		.amdhsa_dx10_clamp 1
		.amdhsa_ieee_mode 1
		.amdhsa_fp16_overflow 0
		.amdhsa_exception_fp_ieee_invalid_op 0
		.amdhsa_exception_fp_denorm_src 0
		.amdhsa_exception_fp_ieee_div_zero 0
		.amdhsa_exception_fp_ieee_overflow 0
		.amdhsa_exception_fp_ieee_underflow 0
		.amdhsa_exception_fp_ieee_inexact 0
		.amdhsa_exception_int_div_zero 0
	.end_amdhsa_kernel
	.section	.text._ZL34rocblas_ger_double_buffered_kernelILb1ELi64ELi16ELi2E19rocblas_complex_numIfE24rocblas_internal_val_ptrIS1_EPKPKS1_PKPS1_EvbiiT4_lT5_lllSC_lllT6_lmli,"axG",@progbits,_ZL34rocblas_ger_double_buffered_kernelILb1ELi64ELi16ELi2E19rocblas_complex_numIfE24rocblas_internal_val_ptrIS1_EPKPKS1_PKPS1_EvbiiT4_lT5_lllSC_lllT6_lmli,comdat
.Lfunc_end62:
	.size	_ZL34rocblas_ger_double_buffered_kernelILb1ELi64ELi16ELi2E19rocblas_complex_numIfE24rocblas_internal_val_ptrIS1_EPKPKS1_PKPS1_EvbiiT4_lT5_lllSC_lllT6_lmli, .Lfunc_end62-_ZL34rocblas_ger_double_buffered_kernelILb1ELi64ELi16ELi2E19rocblas_complex_numIfE24rocblas_internal_val_ptrIS1_EPKPKS1_PKPS1_EvbiiT4_lT5_lllSC_lllT6_lmli
                                        ; -- End function
	.set _ZL34rocblas_ger_double_buffered_kernelILb1ELi64ELi16ELi2E19rocblas_complex_numIfE24rocblas_internal_val_ptrIS1_EPKPKS1_PKPS1_EvbiiT4_lT5_lllSC_lllT6_lmli.num_vgpr, 21
	.set _ZL34rocblas_ger_double_buffered_kernelILb1ELi64ELi16ELi2E19rocblas_complex_numIfE24rocblas_internal_val_ptrIS1_EPKPKS1_PKPS1_EvbiiT4_lT5_lllSC_lllT6_lmli.num_agpr, 0
	.set _ZL34rocblas_ger_double_buffered_kernelILb1ELi64ELi16ELi2E19rocblas_complex_numIfE24rocblas_internal_val_ptrIS1_EPKPKS1_PKPS1_EvbiiT4_lT5_lllSC_lllT6_lmli.numbered_sgpr, 26
	.set _ZL34rocblas_ger_double_buffered_kernelILb1ELi64ELi16ELi2E19rocblas_complex_numIfE24rocblas_internal_val_ptrIS1_EPKPKS1_PKPS1_EvbiiT4_lT5_lllSC_lllT6_lmli.num_named_barrier, 0
	.set _ZL34rocblas_ger_double_buffered_kernelILb1ELi64ELi16ELi2E19rocblas_complex_numIfE24rocblas_internal_val_ptrIS1_EPKPKS1_PKPS1_EvbiiT4_lT5_lllSC_lllT6_lmli.private_seg_size, 0
	.set _ZL34rocblas_ger_double_buffered_kernelILb1ELi64ELi16ELi2E19rocblas_complex_numIfE24rocblas_internal_val_ptrIS1_EPKPKS1_PKPS1_EvbiiT4_lT5_lllSC_lllT6_lmli.uses_vcc, 1
	.set _ZL34rocblas_ger_double_buffered_kernelILb1ELi64ELi16ELi2E19rocblas_complex_numIfE24rocblas_internal_val_ptrIS1_EPKPKS1_PKPS1_EvbiiT4_lT5_lllSC_lllT6_lmli.uses_flat_scratch, 0
	.set _ZL34rocblas_ger_double_buffered_kernelILb1ELi64ELi16ELi2E19rocblas_complex_numIfE24rocblas_internal_val_ptrIS1_EPKPKS1_PKPS1_EvbiiT4_lT5_lllSC_lllT6_lmli.has_dyn_sized_stack, 0
	.set _ZL34rocblas_ger_double_buffered_kernelILb1ELi64ELi16ELi2E19rocblas_complex_numIfE24rocblas_internal_val_ptrIS1_EPKPKS1_PKPS1_EvbiiT4_lT5_lllSC_lllT6_lmli.has_recursion, 0
	.set _ZL34rocblas_ger_double_buffered_kernelILb1ELi64ELi16ELi2E19rocblas_complex_numIfE24rocblas_internal_val_ptrIS1_EPKPKS1_PKPS1_EvbiiT4_lT5_lllSC_lllT6_lmli.has_indirect_call, 0
	.section	.AMDGPU.csdata,"",@progbits
; Kernel info:
; codeLenInByte = 928
; TotalNumSgprs: 30
; NumVgprs: 21
; ScratchSize: 0
; MemoryBound: 0
; FloatMode: 240
; IeeeMode: 1
; LDSByteSize: 0 bytes/workgroup (compile time only)
; SGPRBlocks: 3
; VGPRBlocks: 5
; NumSGPRsForWavesPerEU: 30
; NumVGPRsForWavesPerEU: 21
; Occupancy: 10
; WaveLimiterHint : 1
; COMPUTE_PGM_RSRC2:SCRATCH_EN: 0
; COMPUTE_PGM_RSRC2:USER_SGPR: 6
; COMPUTE_PGM_RSRC2:TRAP_HANDLER: 0
; COMPUTE_PGM_RSRC2:TGID_X_EN: 1
; COMPUTE_PGM_RSRC2:TGID_Y_EN: 1
; COMPUTE_PGM_RSRC2:TGID_Z_EN: 1
; COMPUTE_PGM_RSRC2:TIDIG_COMP_CNT: 1
	.section	.text._ZL18rocblas_ger_kernelILi32ELi32ELi2ELb1E19rocblas_complex_numIfEPKS1_PKS3_PKPS1_EviiT4_lT5_lllSA_lllT6_lmli,"axG",@progbits,_ZL18rocblas_ger_kernelILi32ELi32ELi2ELb1E19rocblas_complex_numIfEPKS1_PKS3_PKPS1_EviiT4_lT5_lllSA_lllT6_lmli,comdat
	.globl	_ZL18rocblas_ger_kernelILi32ELi32ELi2ELb1E19rocblas_complex_numIfEPKS1_PKS3_PKPS1_EviiT4_lT5_lllSA_lllT6_lmli ; -- Begin function _ZL18rocblas_ger_kernelILi32ELi32ELi2ELb1E19rocblas_complex_numIfEPKS1_PKS3_PKPS1_EviiT4_lT5_lllSA_lllT6_lmli
	.p2align	8
	.type	_ZL18rocblas_ger_kernelILi32ELi32ELi2ELb1E19rocblas_complex_numIfEPKS1_PKS3_PKPS1_EviiT4_lT5_lllSA_lllT6_lmli,@function
_ZL18rocblas_ger_kernelILi32ELi32ELi2ELb1E19rocblas_complex_numIfEPKS1_PKS3_PKPS1_EviiT4_lT5_lllSA_lllT6_lmli: ; @_ZL18rocblas_ger_kernelILi32ELi32ELi2ELb1E19rocblas_complex_numIfEPKS1_PKS3_PKPS1_EviiT4_lT5_lllSA_lllT6_lmli
; %bb.0:
	s_load_dwordx2 s[8:9], s[4:5], 0x0
	s_load_dwordx4 s[12:15], s[4:5], 0x8
	s_mov_b32 s0, s7
	s_waitcnt lgkmcnt(0)
	s_add_i32 s1, s8, -1
	s_ashr_i32 s2, s1, 31
	s_lshr_b32 s2, s2, 27
	s_add_i32 s1, s1, s2
	s_ashr_i32 s3, s1, 5
	s_add_i32 s2, s3, 1
	v_cvt_f32_u32_e32 v2, s2
	s_mul_i32 s1, s15, s7
	s_mul_hi_u32 s7, s14, s7
	s_mul_i32 s10, s14, s0
	s_add_i32 s11, s7, s1
	s_lshl_b64 s[10:11], s[10:11], 3
	v_rcp_iflag_f32_e32 v2, v2
	s_add_u32 s12, s12, s10
	s_addc_u32 s13, s13, s11
	s_load_dwordx2 s[10:11], s[12:13], 0x0
	v_mul_f32_e32 v2, 0x4f7ffffe, v2
	v_cvt_u32_f32_e32 v2, v2
	s_waitcnt lgkmcnt(0)
	s_or_b32 s1, s10, s11
	s_bitset0_b32 s1, 31
	v_readfirstlane_b32 s7, v2
	s_cmp_eq_u32 s1, 0
	s_mov_b32 s1, 0
	s_cbranch_scc1 .LBB63_14
; %bb.1:
	s_not_b32 s3, s3
	s_mul_i32 s3, s3, s7
	s_mul_hi_u32 s3, s7, s3
	s_add_i32 s7, s7, s3
	s_mul_hi_u32 s3, s6, s7
	s_mul_i32 s7, s3, s2
	s_sub_i32 s7, s6, s7
	s_add_i32 s14, s3, 1
	s_sub_i32 s15, s7, s2
	s_cmp_ge_u32 s7, s2
	s_cselect_b32 s3, s14, s3
	s_load_dwordx2 s[12:13], s[4:5], 0x58
	s_load_dwordx2 s[18:19], s[4:5], 0x38
	s_cselect_b32 s7, s15, s7
	s_add_i32 s14, s3, 1
	s_cmp_ge_u32 s7, s2
	s_cselect_b32 s16, s14, s3
	s_mul_i32 s2, s16, s2
	s_sub_i32 s17, s6, s2
	s_lshl_b64 s[14:15], s[0:1], 3
	s_waitcnt lgkmcnt(0)
	s_add_u32 s0, s18, s14
	s_addc_u32 s1, s19, s15
	s_add_u32 s2, s12, s14
	s_addc_u32 s3, s13, s15
	s_load_dwordx2 s[0:1], s[0:1], 0x0
	v_lshl_add_u32 v2, s17, 5, v0
	s_load_dwordx2 s[6:7], s[2:3], 0x0
	v_cmp_eq_u32_e32 vcc, 0, v1
	s_and_saveexec_b64 s[2:3], vcc
	s_cbranch_execz .LBB63_5
; %bb.2:
	v_cmp_gt_i32_e32 vcc, s8, v2
	v_mov_b32_e32 v3, 0
	v_mov_b32_e32 v4, 0
	s_and_saveexec_b64 s[12:13], vcc
	s_cbranch_execz .LBB63_4
; %bb.3:
	s_load_dwordx2 s[18:19], s[4:5], 0x18
	s_load_dwordx4 s[20:23], s[4:5], 0x20
	v_ashrrev_i32_e32 v3, 31, v2
	s_waitcnt lgkmcnt(0)
	s_add_u32 s14, s18, s14
	s_addc_u32 s15, s19, s15
	v_mul_lo_u32 v5, s23, v2
	v_mul_lo_u32 v6, s22, v3
	v_mad_u64_u32 v[3:4], s[18:19], s22, v2, 0
	s_load_dwordx2 s[14:15], s[14:15], 0x0
	s_lshl_b64 s[18:19], s[20:21], 3
	v_add3_u32 v4, v4, v6, v5
	v_lshlrev_b64 v[3:4], 3, v[3:4]
	s_waitcnt lgkmcnt(0)
	s_add_u32 s14, s14, s18
	s_addc_u32 s15, s15, s19
	v_mov_b32_e32 v5, s15
	v_add_co_u32_e32 v3, vcc, s14, v3
	v_addc_co_u32_e32 v4, vcc, v5, v4, vcc
	flat_load_dwordx2 v[3:4], v[3:4]
.LBB63_4:
	s_or_b64 exec, exec, s[12:13]
	v_lshlrev_b32_e32 v5, 3, v0
	s_waitcnt vmcnt(0) lgkmcnt(0)
	ds_write_b64 v5, v[3:4] offset:512
.LBB63_5:
	s_or_b64 exec, exec, s[2:3]
	v_lshlrev_b32_e32 v5, 1, v1
	v_lshl_add_u32 v1, s16, 6, v5
	v_cmp_gt_u32_e32 vcc, 2, v0
	s_and_saveexec_b64 s[2:3], vcc
	s_cbranch_execz .LBB63_9
; %bb.6:
	v_or_b32_e32 v6, v1, v0
	v_cmp_gt_u32_e32 vcc, s9, v6
	v_mov_b32_e32 v3, 0
	v_mov_b32_e32 v4, 0
	s_and_saveexec_b64 s[12:13], vcc
	s_cbranch_execz .LBB63_8
; %bb.7:
	s_load_dwordx4 s[16:19], s[4:5], 0x40
	s_waitcnt lgkmcnt(0)
	v_mad_u64_u32 v[3:4], s[14:15], s18, v6, 0
	s_lshl_b64 s[14:15], s[16:17], 3
	s_add_u32 s0, s0, s14
	v_mad_u64_u32 v[6:7], s[16:17], s19, v6, v[4:5]
	s_addc_u32 s1, s1, s15
	v_mov_b32_e32 v7, s1
	v_mov_b32_e32 v4, v6
	v_lshlrev_b64 v[3:4], 3, v[3:4]
	v_add_co_u32_e32 v3, vcc, s0, v3
	v_addc_co_u32_e32 v4, vcc, v7, v4, vcc
	flat_load_dwordx2 v[3:4], v[3:4]
.LBB63_8:
	s_or_b64 exec, exec, s[12:13]
	v_lshlrev_b32_e32 v6, 3, v0
	v_lshl_add_u32 v6, v5, 3, v6
	s_waitcnt vmcnt(0) lgkmcnt(0)
	ds_write_b64 v6, v[3:4]
.LBB63_9:
	s_or_b64 exec, exec, s[2:3]
	v_cmp_gt_i32_e32 vcc, s8, v2
	s_waitcnt lgkmcnt(0)
	s_barrier
	s_and_saveexec_b64 s[0:1], vcc
	s_cbranch_execz .LBB63_14
; %bb.10:
	v_lshlrev_b32_e32 v0, 3, v0
	ds_read_b64 v[3:4], v0 offset:512
	s_load_dwordx4 s[0:3], s[4:5], 0x60
	v_lshlrev_b32_e32 v5, 3, v5
	s_waitcnt lgkmcnt(0)
	v_mul_f32_e32 v0, s11, v4
	v_mul_f32_e32 v4, s10, v4
	s_lshl_b64 s[0:1], s[0:1], 3
	v_fma_f32 v0, v3, s10, -v0
	v_fmac_f32_e32 v4, s11, v3
	v_ashrrev_i32_e32 v3, 31, v2
	s_add_u32 s0, s6, s0
	v_lshlrev_b64 v[2:3], 3, v[2:3]
	s_addc_u32 s1, s7, s1
	v_mov_b32_e32 v6, s1
	v_add_co_u32_e32 v2, vcc, s0, v2
	v_addc_co_u32_e32 v3, vcc, v6, v3, vcc
	v_cmp_gt_i32_e32 vcc, s9, v1
	s_and_saveexec_b64 s[0:1], vcc
	s_cbranch_execz .LBB63_12
; %bb.11:
	v_ashrrev_i32_e32 v8, 31, v1
	v_mul_lo_u32 v9, s3, v1
	v_mad_u64_u32 v[6:7], s[4:5], s2, v1, 0
	v_mul_lo_u32 v8, s2, v8
	ds_read_b64 v[10:11], v5
	v_add3_u32 v7, v7, v8, v9
	v_lshlrev_b64 v[6:7], 3, v[6:7]
	s_waitcnt lgkmcnt(0)
	v_mul_f32_e32 v12, v4, v11
	v_add_co_u32_e32 v6, vcc, v2, v6
	v_addc_co_u32_e32 v7, vcc, v3, v7, vcc
	flat_load_dwordx2 v[8:9], v[6:7]
	v_mul_f32_e32 v11, v0, v11
	v_fmac_f32_e32 v12, v0, v10
	v_fma_f32 v10, v4, v10, -v11
	s_waitcnt vmcnt(0) lgkmcnt(0)
	v_add_f32_e32 v8, v8, v12
	v_add_f32_e32 v9, v10, v9
	flat_store_dwordx2 v[6:7], v[8:9]
.LBB63_12:
	s_or_b64 exec, exec, s[0:1]
	v_or_b32_e32 v1, 1, v1
	v_cmp_gt_i32_e32 vcc, s9, v1
	s_and_b64 exec, exec, vcc
	s_cbranch_execz .LBB63_14
; %bb.13:
	v_ashrrev_i32_e32 v8, 31, v1
	v_mul_lo_u32 v9, s3, v1
	v_mad_u64_u32 v[6:7], s[0:1], s2, v1, 0
	v_mul_lo_u32 v1, s2, v8
	v_add3_u32 v7, v7, v1, v9
	v_lshlrev_b64 v[6:7], 3, v[6:7]
	ds_read_b64 v[8:9], v5 offset:8
	v_add_co_u32_e32 v1, vcc, v2, v6
	v_addc_co_u32_e32 v2, vcc, v3, v7, vcc
	flat_load_dwordx2 v[6:7], v[1:2]
	s_waitcnt lgkmcnt(0)
	v_mul_f32_e32 v3, v4, v9
	v_mul_f32_e32 v5, v0, v9
	v_fmac_f32_e32 v3, v0, v8
	v_fma_f32 v0, v4, v8, -v5
	s_waitcnt vmcnt(0)
	v_add_f32_e32 v3, v6, v3
	v_add_f32_e32 v4, v0, v7
	flat_store_dwordx2 v[1:2], v[3:4]
.LBB63_14:
	s_endpgm
	.section	.rodata,"a",@progbits
	.p2align	6, 0x0
	.amdhsa_kernel _ZL18rocblas_ger_kernelILi32ELi32ELi2ELb1E19rocblas_complex_numIfEPKS1_PKS3_PKPS1_EviiT4_lT5_lllSA_lllT6_lmli
		.amdhsa_group_segment_fixed_size 768
		.amdhsa_private_segment_fixed_size 0
		.amdhsa_kernarg_size 124
		.amdhsa_user_sgpr_count 6
		.amdhsa_user_sgpr_private_segment_buffer 1
		.amdhsa_user_sgpr_dispatch_ptr 0
		.amdhsa_user_sgpr_queue_ptr 0
		.amdhsa_user_sgpr_kernarg_segment_ptr 1
		.amdhsa_user_sgpr_dispatch_id 0
		.amdhsa_user_sgpr_flat_scratch_init 0
		.amdhsa_user_sgpr_private_segment_size 0
		.amdhsa_uses_dynamic_stack 0
		.amdhsa_system_sgpr_private_segment_wavefront_offset 0
		.amdhsa_system_sgpr_workgroup_id_x 1
		.amdhsa_system_sgpr_workgroup_id_y 0
		.amdhsa_system_sgpr_workgroup_id_z 1
		.amdhsa_system_sgpr_workgroup_info 0
		.amdhsa_system_vgpr_workitem_id 1
		.amdhsa_next_free_vgpr 13
		.amdhsa_next_free_sgpr 24
		.amdhsa_reserve_vcc 1
		.amdhsa_reserve_flat_scratch 0
		.amdhsa_float_round_mode_32 0
		.amdhsa_float_round_mode_16_64 0
		.amdhsa_float_denorm_mode_32 3
		.amdhsa_float_denorm_mode_16_64 3
		.amdhsa_dx10_clamp 1
		.amdhsa_ieee_mode 1
		.amdhsa_fp16_overflow 0
		.amdhsa_exception_fp_ieee_invalid_op 0
		.amdhsa_exception_fp_denorm_src 0
		.amdhsa_exception_fp_ieee_div_zero 0
		.amdhsa_exception_fp_ieee_overflow 0
		.amdhsa_exception_fp_ieee_underflow 0
		.amdhsa_exception_fp_ieee_inexact 0
		.amdhsa_exception_int_div_zero 0
	.end_amdhsa_kernel
	.section	.text._ZL18rocblas_ger_kernelILi32ELi32ELi2ELb1E19rocblas_complex_numIfEPKS1_PKS3_PKPS1_EviiT4_lT5_lllSA_lllT6_lmli,"axG",@progbits,_ZL18rocblas_ger_kernelILi32ELi32ELi2ELb1E19rocblas_complex_numIfEPKS1_PKS3_PKPS1_EviiT4_lT5_lllSA_lllT6_lmli,comdat
.Lfunc_end63:
	.size	_ZL18rocblas_ger_kernelILi32ELi32ELi2ELb1E19rocblas_complex_numIfEPKS1_PKS3_PKPS1_EviiT4_lT5_lllSA_lllT6_lmli, .Lfunc_end63-_ZL18rocblas_ger_kernelILi32ELi32ELi2ELb1E19rocblas_complex_numIfEPKS1_PKS3_PKPS1_EviiT4_lT5_lllSA_lllT6_lmli
                                        ; -- End function
	.set _ZL18rocblas_ger_kernelILi32ELi32ELi2ELb1E19rocblas_complex_numIfEPKS1_PKS3_PKPS1_EviiT4_lT5_lllSA_lllT6_lmli.num_vgpr, 13
	.set _ZL18rocblas_ger_kernelILi32ELi32ELi2ELb1E19rocblas_complex_numIfEPKS1_PKS3_PKPS1_EviiT4_lT5_lllSA_lllT6_lmli.num_agpr, 0
	.set _ZL18rocblas_ger_kernelILi32ELi32ELi2ELb1E19rocblas_complex_numIfEPKS1_PKS3_PKPS1_EviiT4_lT5_lllSA_lllT6_lmli.numbered_sgpr, 24
	.set _ZL18rocblas_ger_kernelILi32ELi32ELi2ELb1E19rocblas_complex_numIfEPKS1_PKS3_PKPS1_EviiT4_lT5_lllSA_lllT6_lmli.num_named_barrier, 0
	.set _ZL18rocblas_ger_kernelILi32ELi32ELi2ELb1E19rocblas_complex_numIfEPKS1_PKS3_PKPS1_EviiT4_lT5_lllSA_lllT6_lmli.private_seg_size, 0
	.set _ZL18rocblas_ger_kernelILi32ELi32ELi2ELb1E19rocblas_complex_numIfEPKS1_PKS3_PKPS1_EviiT4_lT5_lllSA_lllT6_lmli.uses_vcc, 1
	.set _ZL18rocblas_ger_kernelILi32ELi32ELi2ELb1E19rocblas_complex_numIfEPKS1_PKS3_PKPS1_EviiT4_lT5_lllSA_lllT6_lmli.uses_flat_scratch, 0
	.set _ZL18rocblas_ger_kernelILi32ELi32ELi2ELb1E19rocblas_complex_numIfEPKS1_PKS3_PKPS1_EviiT4_lT5_lllSA_lllT6_lmli.has_dyn_sized_stack, 0
	.set _ZL18rocblas_ger_kernelILi32ELi32ELi2ELb1E19rocblas_complex_numIfEPKS1_PKS3_PKPS1_EviiT4_lT5_lllSA_lllT6_lmli.has_recursion, 0
	.set _ZL18rocblas_ger_kernelILi32ELi32ELi2ELb1E19rocblas_complex_numIfEPKS1_PKS3_PKPS1_EviiT4_lT5_lllSA_lllT6_lmli.has_indirect_call, 0
	.section	.AMDGPU.csdata,"",@progbits
; Kernel info:
; codeLenInByte = 952
; TotalNumSgprs: 28
; NumVgprs: 13
; ScratchSize: 0
; MemoryBound: 0
; FloatMode: 240
; IeeeMode: 1
; LDSByteSize: 768 bytes/workgroup (compile time only)
; SGPRBlocks: 3
; VGPRBlocks: 3
; NumSGPRsForWavesPerEU: 28
; NumVGPRsForWavesPerEU: 13
; Occupancy: 10
; WaveLimiterHint : 1
; COMPUTE_PGM_RSRC2:SCRATCH_EN: 0
; COMPUTE_PGM_RSRC2:USER_SGPR: 6
; COMPUTE_PGM_RSRC2:TRAP_HANDLER: 0
; COMPUTE_PGM_RSRC2:TGID_X_EN: 1
; COMPUTE_PGM_RSRC2:TGID_Y_EN: 0
; COMPUTE_PGM_RSRC2:TGID_Z_EN: 1
; COMPUTE_PGM_RSRC2:TIDIG_COMP_CNT: 1
	.section	.text._ZL18rocblas_ger_kernelILi32ELi32ELi2ELb1E19rocblas_complex_numIfES1_PKPKS1_PKPS1_EviiT4_lT5_lllSA_lllT6_lmli,"axG",@progbits,_ZL18rocblas_ger_kernelILi32ELi32ELi2ELb1E19rocblas_complex_numIfES1_PKPKS1_PKPS1_EviiT4_lT5_lllSA_lllT6_lmli,comdat
	.globl	_ZL18rocblas_ger_kernelILi32ELi32ELi2ELb1E19rocblas_complex_numIfES1_PKPKS1_PKPS1_EviiT4_lT5_lllSA_lllT6_lmli ; -- Begin function _ZL18rocblas_ger_kernelILi32ELi32ELi2ELb1E19rocblas_complex_numIfES1_PKPKS1_PKPS1_EviiT4_lT5_lllSA_lllT6_lmli
	.p2align	8
	.type	_ZL18rocblas_ger_kernelILi32ELi32ELi2ELb1E19rocblas_complex_numIfES1_PKPKS1_PKPS1_EviiT4_lT5_lllSA_lllT6_lmli,@function
_ZL18rocblas_ger_kernelILi32ELi32ELi2ELb1E19rocblas_complex_numIfES1_PKPKS1_PKPS1_EviiT4_lT5_lllSA_lllT6_lmli: ; @_ZL18rocblas_ger_kernelILi32ELi32ELi2ELb1E19rocblas_complex_numIfES1_PKPKS1_PKPS1_EviiT4_lT5_lllSA_lllT6_lmli
; %bb.0:
	s_load_dwordx4 s[0:3], s[4:5], 0x0
	s_mov_b32 s8, s7
	s_waitcnt lgkmcnt(0)
	s_add_i32 s7, s0, -1
	s_ashr_i32 s9, s7, 31
	s_lshr_b32 s9, s9, 27
	s_add_i32 s7, s7, s9
	s_ashr_i32 s10, s7, 5
	s_add_i32 s7, s10, 1
	v_cvt_f32_u32_e32 v2, s7
	s_or_b32 s9, s2, s3
	s_bitset0_b32 s9, 31
	s_cmp_eq_u32 s9, 0
	v_rcp_iflag_f32_e32 v2, v2
	s_mov_b32 s9, 0
	v_mul_f32_e32 v2, 0x4f7ffffe, v2
	v_cvt_u32_f32_e32 v2, v2
	v_readfirstlane_b32 s11, v2
	s_cbranch_scc1 .LBB64_14
; %bb.1:
	s_not_b32 s10, s10
	s_mul_i32 s10, s10, s11
	s_mul_hi_u32 s10, s11, s10
	s_add_i32 s11, s11, s10
	s_mul_hi_u32 s10, s6, s11
	s_mul_i32 s11, s10, s7
	s_sub_i32 s11, s6, s11
	s_add_i32 s14, s10, 1
	s_sub_i32 s15, s11, s7
	s_cmp_ge_u32 s11, s7
	s_cselect_b32 s10, s14, s10
	s_load_dwordx2 s[12:13], s[4:5], 0x58
	s_load_dwordx2 s[18:19], s[4:5], 0x38
	s_cselect_b32 s11, s15, s11
	s_add_i32 s14, s10, 1
	s_cmp_ge_u32 s11, s7
	s_cselect_b32 s16, s14, s10
	s_mul_i32 s7, s16, s7
	s_sub_i32 s10, s6, s7
	s_lshl_b64 s[14:15], s[8:9], 3
	s_waitcnt lgkmcnt(0)
	s_add_u32 s6, s18, s14
	s_addc_u32 s7, s19, s15
	s_add_u32 s8, s12, s14
	s_addc_u32 s9, s13, s15
	s_load_dwordx2 s[6:7], s[6:7], 0x0
	v_lshl_add_u32 v2, s10, 5, v0
	s_load_dwordx2 s[8:9], s[8:9], 0x0
	v_cmp_eq_u32_e32 vcc, 0, v1
	s_and_saveexec_b64 s[10:11], vcc
	s_cbranch_execz .LBB64_5
; %bb.2:
	v_cmp_gt_i32_e32 vcc, s0, v2
	v_mov_b32_e32 v3, 0
	v_mov_b32_e32 v4, 0
	s_and_saveexec_b64 s[12:13], vcc
	s_cbranch_execz .LBB64_4
; %bb.3:
	s_load_dwordx2 s[18:19], s[4:5], 0x18
	s_load_dwordx4 s[20:23], s[4:5], 0x20
	v_ashrrev_i32_e32 v3, 31, v2
	s_waitcnt lgkmcnt(0)
	s_add_u32 s14, s18, s14
	s_addc_u32 s15, s19, s15
	v_mul_lo_u32 v5, s23, v2
	v_mul_lo_u32 v6, s22, v3
	v_mad_u64_u32 v[3:4], s[18:19], s22, v2, 0
	s_load_dwordx2 s[14:15], s[14:15], 0x0
	s_lshl_b64 s[18:19], s[20:21], 3
	v_add3_u32 v4, v4, v6, v5
	v_lshlrev_b64 v[3:4], 3, v[3:4]
	s_waitcnt lgkmcnt(0)
	s_add_u32 s14, s14, s18
	s_addc_u32 s15, s15, s19
	v_mov_b32_e32 v5, s15
	v_add_co_u32_e32 v3, vcc, s14, v3
	v_addc_co_u32_e32 v4, vcc, v5, v4, vcc
	flat_load_dwordx2 v[3:4], v[3:4]
.LBB64_4:
	s_or_b64 exec, exec, s[12:13]
	v_lshlrev_b32_e32 v5, 3, v0
	s_waitcnt vmcnt(0) lgkmcnt(0)
	ds_write_b64 v5, v[3:4] offset:512
.LBB64_5:
	s_or_b64 exec, exec, s[10:11]
	v_lshlrev_b32_e32 v5, 1, v1
	v_lshl_add_u32 v1, s16, 6, v5
	v_cmp_gt_u32_e32 vcc, 2, v0
	s_and_saveexec_b64 s[10:11], vcc
	s_cbranch_execz .LBB64_9
; %bb.6:
	v_or_b32_e32 v6, v1, v0
	v_cmp_gt_u32_e32 vcc, s1, v6
	v_mov_b32_e32 v3, 0
	v_mov_b32_e32 v4, 0
	s_and_saveexec_b64 s[12:13], vcc
	s_cbranch_execz .LBB64_8
; %bb.7:
	s_load_dwordx4 s[16:19], s[4:5], 0x40
	s_waitcnt lgkmcnt(0)
	v_mad_u64_u32 v[3:4], s[14:15], s18, v6, 0
	s_lshl_b64 s[14:15], s[16:17], 3
	s_add_u32 s6, s6, s14
	v_mad_u64_u32 v[6:7], s[16:17], s19, v6, v[4:5]
	s_addc_u32 s7, s7, s15
	v_mov_b32_e32 v7, s7
	v_mov_b32_e32 v4, v6
	v_lshlrev_b64 v[3:4], 3, v[3:4]
	v_add_co_u32_e32 v3, vcc, s6, v3
	v_addc_co_u32_e32 v4, vcc, v7, v4, vcc
	flat_load_dwordx2 v[3:4], v[3:4]
.LBB64_8:
	s_or_b64 exec, exec, s[12:13]
	v_lshlrev_b32_e32 v6, 3, v0
	v_lshl_add_u32 v6, v5, 3, v6
	s_waitcnt vmcnt(0) lgkmcnt(0)
	ds_write_b64 v6, v[3:4]
.LBB64_9:
	s_or_b64 exec, exec, s[10:11]
	v_cmp_gt_i32_e32 vcc, s0, v2
	s_waitcnt lgkmcnt(0)
	s_barrier
	s_and_saveexec_b64 s[6:7], vcc
	s_cbranch_execz .LBB64_14
; %bb.10:
	v_lshlrev_b32_e32 v0, 3, v0
	ds_read_b64 v[3:4], v0 offset:512
	s_load_dwordx4 s[4:7], s[4:5], 0x60
	v_lshlrev_b32_e32 v5, 3, v5
	s_waitcnt lgkmcnt(0)
	v_mul_f32_e32 v0, s3, v4
	v_mul_f32_e32 v4, s2, v4
	s_lshl_b64 s[4:5], s[4:5], 3
	v_fma_f32 v0, v3, s2, -v0
	v_fmac_f32_e32 v4, s3, v3
	v_ashrrev_i32_e32 v3, 31, v2
	s_add_u32 s0, s8, s4
	v_lshlrev_b64 v[2:3], 3, v[2:3]
	s_addc_u32 s4, s9, s5
	v_mov_b32_e32 v6, s4
	v_add_co_u32_e32 v2, vcc, s0, v2
	v_addc_co_u32_e32 v3, vcc, v6, v3, vcc
	v_cmp_gt_i32_e32 vcc, s1, v1
	s_and_saveexec_b64 s[2:3], vcc
	s_cbranch_execz .LBB64_12
; %bb.11:
	v_ashrrev_i32_e32 v8, 31, v1
	v_mul_lo_u32 v9, s7, v1
	v_mad_u64_u32 v[6:7], s[4:5], s6, v1, 0
	v_mul_lo_u32 v8, s6, v8
	ds_read_b64 v[10:11], v5
	v_add3_u32 v7, v7, v8, v9
	v_lshlrev_b64 v[6:7], 3, v[6:7]
	s_waitcnt lgkmcnt(0)
	v_mul_f32_e32 v12, v4, v11
	v_add_co_u32_e32 v6, vcc, v2, v6
	v_addc_co_u32_e32 v7, vcc, v3, v7, vcc
	flat_load_dwordx2 v[8:9], v[6:7]
	v_mul_f32_e32 v11, v0, v11
	v_fmac_f32_e32 v12, v0, v10
	v_fma_f32 v10, v4, v10, -v11
	s_waitcnt vmcnt(0) lgkmcnt(0)
	v_add_f32_e32 v8, v8, v12
	v_add_f32_e32 v9, v10, v9
	flat_store_dwordx2 v[6:7], v[8:9]
.LBB64_12:
	s_or_b64 exec, exec, s[2:3]
	v_or_b32_e32 v1, 1, v1
	v_cmp_gt_i32_e32 vcc, s1, v1
	s_and_b64 exec, exec, vcc
	s_cbranch_execz .LBB64_14
; %bb.13:
	v_ashrrev_i32_e32 v8, 31, v1
	v_mul_lo_u32 v9, s7, v1
	v_mad_u64_u32 v[6:7], s[0:1], s6, v1, 0
	v_mul_lo_u32 v1, s6, v8
	v_add3_u32 v7, v7, v1, v9
	v_lshlrev_b64 v[6:7], 3, v[6:7]
	ds_read_b64 v[8:9], v5 offset:8
	v_add_co_u32_e32 v1, vcc, v2, v6
	v_addc_co_u32_e32 v2, vcc, v3, v7, vcc
	flat_load_dwordx2 v[6:7], v[1:2]
	s_waitcnt lgkmcnt(0)
	v_mul_f32_e32 v3, v4, v9
	v_mul_f32_e32 v5, v0, v9
	v_fmac_f32_e32 v3, v0, v8
	v_fma_f32 v0, v4, v8, -v5
	s_waitcnt vmcnt(0)
	v_add_f32_e32 v3, v6, v3
	v_add_f32_e32 v4, v0, v7
	flat_store_dwordx2 v[1:2], v[3:4]
.LBB64_14:
	s_endpgm
	.section	.rodata,"a",@progbits
	.p2align	6, 0x0
	.amdhsa_kernel _ZL18rocblas_ger_kernelILi32ELi32ELi2ELb1E19rocblas_complex_numIfES1_PKPKS1_PKPS1_EviiT4_lT5_lllSA_lllT6_lmli
		.amdhsa_group_segment_fixed_size 768
		.amdhsa_private_segment_fixed_size 0
		.amdhsa_kernarg_size 124
		.amdhsa_user_sgpr_count 6
		.amdhsa_user_sgpr_private_segment_buffer 1
		.amdhsa_user_sgpr_dispatch_ptr 0
		.amdhsa_user_sgpr_queue_ptr 0
		.amdhsa_user_sgpr_kernarg_segment_ptr 1
		.amdhsa_user_sgpr_dispatch_id 0
		.amdhsa_user_sgpr_flat_scratch_init 0
		.amdhsa_user_sgpr_private_segment_size 0
		.amdhsa_uses_dynamic_stack 0
		.amdhsa_system_sgpr_private_segment_wavefront_offset 0
		.amdhsa_system_sgpr_workgroup_id_x 1
		.amdhsa_system_sgpr_workgroup_id_y 0
		.amdhsa_system_sgpr_workgroup_id_z 1
		.amdhsa_system_sgpr_workgroup_info 0
		.amdhsa_system_vgpr_workitem_id 1
		.amdhsa_next_free_vgpr 13
		.amdhsa_next_free_sgpr 24
		.amdhsa_reserve_vcc 1
		.amdhsa_reserve_flat_scratch 0
		.amdhsa_float_round_mode_32 0
		.amdhsa_float_round_mode_16_64 0
		.amdhsa_float_denorm_mode_32 3
		.amdhsa_float_denorm_mode_16_64 3
		.amdhsa_dx10_clamp 1
		.amdhsa_ieee_mode 1
		.amdhsa_fp16_overflow 0
		.amdhsa_exception_fp_ieee_invalid_op 0
		.amdhsa_exception_fp_denorm_src 0
		.amdhsa_exception_fp_ieee_div_zero 0
		.amdhsa_exception_fp_ieee_overflow 0
		.amdhsa_exception_fp_ieee_underflow 0
		.amdhsa_exception_fp_ieee_inexact 0
		.amdhsa_exception_int_div_zero 0
	.end_amdhsa_kernel
	.section	.text._ZL18rocblas_ger_kernelILi32ELi32ELi2ELb1E19rocblas_complex_numIfES1_PKPKS1_PKPS1_EviiT4_lT5_lllSA_lllT6_lmli,"axG",@progbits,_ZL18rocblas_ger_kernelILi32ELi32ELi2ELb1E19rocblas_complex_numIfES1_PKPKS1_PKPS1_EviiT4_lT5_lllSA_lllT6_lmli,comdat
.Lfunc_end64:
	.size	_ZL18rocblas_ger_kernelILi32ELi32ELi2ELb1E19rocblas_complex_numIfES1_PKPKS1_PKPS1_EviiT4_lT5_lllSA_lllT6_lmli, .Lfunc_end64-_ZL18rocblas_ger_kernelILi32ELi32ELi2ELb1E19rocblas_complex_numIfES1_PKPKS1_PKPS1_EviiT4_lT5_lllSA_lllT6_lmli
                                        ; -- End function
	.set _ZL18rocblas_ger_kernelILi32ELi32ELi2ELb1E19rocblas_complex_numIfES1_PKPKS1_PKPS1_EviiT4_lT5_lllSA_lllT6_lmli.num_vgpr, 13
	.set _ZL18rocblas_ger_kernelILi32ELi32ELi2ELb1E19rocblas_complex_numIfES1_PKPKS1_PKPS1_EviiT4_lT5_lllSA_lllT6_lmli.num_agpr, 0
	.set _ZL18rocblas_ger_kernelILi32ELi32ELi2ELb1E19rocblas_complex_numIfES1_PKPKS1_PKPS1_EviiT4_lT5_lllSA_lllT6_lmli.numbered_sgpr, 24
	.set _ZL18rocblas_ger_kernelILi32ELi32ELi2ELb1E19rocblas_complex_numIfES1_PKPKS1_PKPS1_EviiT4_lT5_lllSA_lllT6_lmli.num_named_barrier, 0
	.set _ZL18rocblas_ger_kernelILi32ELi32ELi2ELb1E19rocblas_complex_numIfES1_PKPKS1_PKPS1_EviiT4_lT5_lllSA_lllT6_lmli.private_seg_size, 0
	.set _ZL18rocblas_ger_kernelILi32ELi32ELi2ELb1E19rocblas_complex_numIfES1_PKPKS1_PKPS1_EviiT4_lT5_lllSA_lllT6_lmli.uses_vcc, 1
	.set _ZL18rocblas_ger_kernelILi32ELi32ELi2ELb1E19rocblas_complex_numIfES1_PKPKS1_PKPS1_EviiT4_lT5_lllSA_lllT6_lmli.uses_flat_scratch, 0
	.set _ZL18rocblas_ger_kernelILi32ELi32ELi2ELb1E19rocblas_complex_numIfES1_PKPKS1_PKPS1_EviiT4_lT5_lllSA_lllT6_lmli.has_dyn_sized_stack, 0
	.set _ZL18rocblas_ger_kernelILi32ELi32ELi2ELb1E19rocblas_complex_numIfES1_PKPKS1_PKPS1_EviiT4_lT5_lllSA_lllT6_lmli.has_recursion, 0
	.set _ZL18rocblas_ger_kernelILi32ELi32ELi2ELb1E19rocblas_complex_numIfES1_PKPKS1_PKPS1_EviiT4_lT5_lllSA_lllT6_lmli.has_indirect_call, 0
	.section	.AMDGPU.csdata,"",@progbits
; Kernel info:
; codeLenInByte = 904
; TotalNumSgprs: 28
; NumVgprs: 13
; ScratchSize: 0
; MemoryBound: 0
; FloatMode: 240
; IeeeMode: 1
; LDSByteSize: 768 bytes/workgroup (compile time only)
; SGPRBlocks: 3
; VGPRBlocks: 3
; NumSGPRsForWavesPerEU: 28
; NumVGPRsForWavesPerEU: 13
; Occupancy: 10
; WaveLimiterHint : 1
; COMPUTE_PGM_RSRC2:SCRATCH_EN: 0
; COMPUTE_PGM_RSRC2:USER_SGPR: 6
; COMPUTE_PGM_RSRC2:TRAP_HANDLER: 0
; COMPUTE_PGM_RSRC2:TGID_X_EN: 1
; COMPUTE_PGM_RSRC2:TGID_Y_EN: 0
; COMPUTE_PGM_RSRC2:TGID_Z_EN: 1
; COMPUTE_PGM_RSRC2:TIDIG_COMP_CNT: 1
	.section	.text._ZL34rocblas_ger_double_buffered_kernelILb1ELi64ELi16ELi2E19rocblas_complex_numIdE24rocblas_internal_val_ptrIS1_EPKPKS1_PKPS1_EvbiiT4_lT5_lllSC_lllT6_lmli,"axG",@progbits,_ZL34rocblas_ger_double_buffered_kernelILb1ELi64ELi16ELi2E19rocblas_complex_numIdE24rocblas_internal_val_ptrIS1_EPKPKS1_PKPS1_EvbiiT4_lT5_lllSC_lllT6_lmli,comdat
	.globl	_ZL34rocblas_ger_double_buffered_kernelILb1ELi64ELi16ELi2E19rocblas_complex_numIdE24rocblas_internal_val_ptrIS1_EPKPKS1_PKPS1_EvbiiT4_lT5_lllSC_lllT6_lmli ; -- Begin function _ZL34rocblas_ger_double_buffered_kernelILb1ELi64ELi16ELi2E19rocblas_complex_numIdE24rocblas_internal_val_ptrIS1_EPKPKS1_PKPS1_EvbiiT4_lT5_lllSC_lllT6_lmli
	.p2align	8
	.type	_ZL34rocblas_ger_double_buffered_kernelILb1ELi64ELi16ELi2E19rocblas_complex_numIdE24rocblas_internal_val_ptrIS1_EPKPKS1_PKPS1_EvbiiT4_lT5_lllSC_lllT6_lmli,@function
_ZL34rocblas_ger_double_buffered_kernelILb1ELi64ELi16ELi2E19rocblas_complex_numIdE24rocblas_internal_val_ptrIS1_EPKPKS1_PKPS1_EvbiiT4_lT5_lllSC_lllT6_lmli: ; @_ZL34rocblas_ger_double_buffered_kernelILb1ELi64ELi16ELi2E19rocblas_complex_numIdE24rocblas_internal_val_ptrIS1_EPKPKS1_PKPS1_EvbiiT4_lT5_lllSC_lllT6_lmli
; %bb.0:
	s_load_dword s0, s[4:5], 0x0
	s_load_dwordx2 s[10:11], s[4:5], 0x10
	s_mov_b32 s9, 0
	s_waitcnt lgkmcnt(0)
	s_bitcmp0_b32 s0, 0
	s_cbranch_scc0 .LBB65_2
; %bb.1:
	s_load_dwordx2 s[0:1], s[4:5], 0x20
	s_waitcnt lgkmcnt(0)
	s_mul_i32 s1, s1, s8
	s_mul_hi_u32 s2, s0, s8
	s_add_i32 s1, s2, s1
	s_mul_i32 s0, s0, s8
	s_lshl_b64 s[0:1], s[0:1], 4
	s_add_u32 s12, s10, s0
	s_addc_u32 s13, s11, s1
	s_load_dwordx4 s[0:3], s[12:13], 0x0
	s_cbranch_execz .LBB65_3
	s_branch .LBB65_4
.LBB65_2:
                                        ; implicit-def: $sgpr2_sgpr3
.LBB65_3:
	s_waitcnt lgkmcnt(0)
	s_load_dwordx2 s[2:3], s[4:5], 0x18
	s_mov_b64 s[0:1], s[10:11]
.LBB65_4:
	s_waitcnt lgkmcnt(0)
	v_cmp_neq_f64_e64 s[10:11], s[0:1], 0
	v_cmp_neq_f64_e64 s[12:13], s[2:3], 0
	s_or_b64 s[10:11], s[10:11], s[12:13]
	s_andn2_b64 vcc, exec, s[10:11]
	s_cbranch_vccnz .LBB65_6
; %bb.5:
	s_load_dwordx2 s[10:11], s[4:5], 0x68
	s_load_dwordx4 s[12:15], s[4:5], 0x70
	s_lshl_b64 s[20:21], s[8:9], 3
	v_and_b32_e32 v4, 31, v0
	v_lshl_add_u32 v3, v1, 6, v0
	s_waitcnt lgkmcnt(0)
	s_add_u32 s16, s10, s20
	s_addc_u32 s17, s11, s21
	s_load_dwordx2 s[18:19], s[16:17], 0x0
	s_load_dwordx2 s[22:23], s[4:5], 0x48
	s_load_dwordx4 s[8:11], s[4:5], 0x50
	s_lshl_b64 s[12:13], s[12:13], 4
	v_lshrrev_b32_e32 v6, 4, v3
	s_waitcnt lgkmcnt(0)
	s_add_u32 s26, s18, s12
	s_addc_u32 s27, s19, s13
	s_add_u32 s12, s22, s20
	s_addc_u32 s13, s23, s21
	s_load_dwordx2 s[22:23], s[12:13], 0x0
	s_load_dwordx2 s[24:25], s[4:5], 0x28
	s_load_dwordx4 s[16:19], s[4:5], 0x30
	s_lshl_b64 s[4:5], s[8:9], 4
	v_or_b32_e32 v3, 32, v4
	s_waitcnt lgkmcnt(0)
	s_add_u32 s12, s22, s4
	s_addc_u32 s13, s23, s5
	s_add_u32 s4, s24, s20
	s_addc_u32 s5, s25, s21
	s_load_dwordx2 s[4:5], s[4:5], 0x0
	s_lshl_b64 s[8:9], s[16:17], 4
	v_and_b32_e32 v5, 0x1ffe, v6
	v_or_b32_e32 v17, 1, v6
	v_lshlrev_b32_e32 v25, 4, v4
	s_waitcnt lgkmcnt(0)
	s_add_u32 s16, s4, s8
	s_addc_u32 s17, s5, s9
	s_lshl_b32 s4, s6, 6
	s_ashr_i32 s5, s4, 31
	s_lshl_b64 s[8:9], s[4:5], 4
	s_add_u32 s8, s26, s8
	s_addc_u32 s9, s27, s9
	s_lshl_b32 s20, s7, 6
	s_ashr_i32 s21, s20, 31
	s_mul_hi_u32 s7, s14, s20
	s_mul_i32 s23, s14, s21
	s_mul_i32 s22, s15, s20
	s_add_i32 s7, s7, s23
	s_mul_i32 s6, s14, s20
	s_add_i32 s7, s7, s22
	s_lshl_b64 s[6:7], s[6:7], 4
	s_add_u32 s8, s8, s6
	s_mul_i32 s5, s18, s5
	s_mul_hi_u32 s6, s18, s4
	s_addc_u32 s9, s9, s7
	s_add_i32 s5, s6, s5
	s_mul_i32 s6, s19, s4
	s_add_i32 s5, s5, s6
	s_mul_i32 s4, s18, s4
	s_lshl_b64 s[4:5], s[4:5], 4
	s_add_u32 s16, s16, s4
	s_addc_u32 s17, s17, s5
	v_mad_u64_u32 v[0:1], s[4:5], s18, v4, 0
	s_mul_i32 s6, s10, s21
	s_mul_hi_u32 s4, s10, s20
	s_add_i32 s6, s4, s6
	v_mad_u64_u32 v[1:2], s[4:5], s19, v4, v[1:2]
	v_mad_u64_u32 v[7:8], s[4:5], s18, v3, 0
	v_lshlrev_b64 v[0:1], 4, v[0:1]
	v_mov_b32_e32 v2, s17
	v_add_co_u32_e32 v0, vcc, s16, v0
	v_addc_co_u32_e32 v1, vcc, v2, v1, vcc
	v_mov_b32_e32 v2, v8
	v_mad_u64_u32 v[8:9], s[4:5], s19, v3, v[2:3]
	v_mov_b32_e32 v9, s17
	flat_load_dwordx4 v[0:3], v[0:1]
	v_lshlrev_b64 v[7:8], 4, v[7:8]
	v_mad_u64_u32 v[11:12], s[4:5], s10, v5, 0
	v_add_co_u32_e32 v7, vcc, s16, v7
	v_addc_co_u32_e32 v8, vcc, v9, v8, vcc
	flat_load_dwordx4 v[7:10], v[7:8]
	s_mul_i32 s7, s11, s20
	s_add_i32 s7, s6, s7
	s_mul_i32 s6, s10, s20
	v_mad_u64_u32 v[12:13], s[16:17], s11, v5, v[12:13]
	s_lshl_b64 s[4:5], s[14:15], 4
	s_lshl_b64 s[6:7], s[6:7], 4
	s_add_u32 s12, s12, s6
	s_addc_u32 s13, s13, s7
	v_mad_u64_u32 v[15:16], s[6:7], s10, v17, 0
	v_lshlrev_b64 v[11:12], 4, v[11:12]
	v_mov_b32_e32 v13, s13
	v_add_co_u32_e32 v11, vcc, s12, v11
	v_addc_co_u32_e32 v12, vcc, v13, v12, vcc
	v_mov_b32_e32 v6, v16
	flat_load_dwordx4 v[11:14], v[11:12]
	v_mad_u64_u32 v[19:20], s[6:7], s14, v5, 0
	v_mov_b32_e32 v26, s9
	s_waitcnt vmcnt(0) lgkmcnt(0)
	v_mad_u64_u32 v[16:17], s[6:7], s11, v17, v[6:7]
	v_mov_b32_e32 v6, s13
	v_mul_f64 v[21:22], s[0:1], v[9:10]
	v_lshlrev_b64 v[15:16], 4, v[15:16]
	v_mul_f64 v[9:10], s[2:3], v[9:10]
	v_add_co_u32_e32 v15, vcc, s12, v15
	v_addc_co_u32_e32 v16, vcc, v6, v16, vcc
	flat_load_dwordx4 v[15:18], v[15:16]
	v_mov_b32_e32 v6, v20
	v_mad_u64_u32 v[5:6], s[6:7], s15, v5, v[6:7]
	v_fma_f64 v[21:22], s[2:3], v[7:8], v[21:22]
	v_mov_b32_e32 v20, v5
	v_mul_f64 v[5:6], s[0:1], v[2:3]
	v_mul_f64 v[2:3], s[2:3], v[2:3]
	v_lshlrev_b64 v[19:20], 4, v[19:20]
	v_fma_f64 v[4:5], s[2:3], v[0:1], v[5:6]
	v_fma_f64 v[6:7], s[0:1], v[7:8], -v[9:10]
	v_mul_f64 v[8:9], v[21:22], v[13:14]
	v_fma_f64 v[23:24], s[0:1], v[0:1], -v[2:3]
	v_add_co_u32_e32 v10, vcc, s8, v19
	v_addc_co_u32_e32 v20, vcc, v26, v20, vcc
	v_mul_f64 v[0:1], v[4:5], v[13:14]
	v_add_co_u32_e32 v19, vcc, v10, v25
	v_fma_f64 v[29:30], v[6:7], v[11:12], v[8:9]
	v_mul_f64 v[2:3], v[23:24], v[13:14]
	v_mul_f64 v[13:14], v[6:7], v[13:14]
	v_addc_co_u32_e32 v20, vcc, 0, v20, vcc
	v_fma_f64 v[25:26], v[23:24], v[11:12], v[0:1]
	v_fma_f64 v[27:28], v[4:5], v[11:12], -v[2:3]
	v_fma_f64 v[31:32], v[21:22], v[11:12], -v[13:14]
	flat_load_dwordx4 v[0:3], v[19:20]
	s_waitcnt vmcnt(0) lgkmcnt(0)
	v_mul_f64 v[8:9], v[4:5], v[17:18]
	v_fma_f64 v[33:34], v[23:24], v[15:16], v[8:9]
	v_mul_f64 v[8:9], v[23:24], v[17:18]
	v_fma_f64 v[23:24], v[4:5], v[15:16], -v[8:9]
	v_mul_f64 v[4:5], v[21:22], v[17:18]
	v_mov_b32_e32 v8, s5
	v_fma_f64 v[35:36], v[6:7], v[15:16], v[4:5]
	v_mul_f64 v[4:5], v[6:7], v[17:18]
	v_fma_f64 v[16:17], v[21:22], v[15:16], -v[4:5]
	v_add_co_u32_e32 v21, vcc, s4, v19
	v_addc_co_u32_e32 v22, vcc, v20, v8, vcc
	flat_load_dwordx4 v[4:7], v[19:20] offset:512
	flat_load_dwordx4 v[8:11], v[21:22]
	flat_load_dwordx4 v[12:15], v[21:22] offset:512
	v_add_f64 v[0:1], v[0:1], v[25:26]
	v_add_f64 v[2:3], v[27:28], v[2:3]
	s_waitcnt vmcnt(0) lgkmcnt(0)
	v_add_f64 v[4:5], v[4:5], v[29:30]
	v_add_f64 v[8:9], v[8:9], v[33:34]
	;; [unrolled: 1-line block ×6, first 2 shown]
	flat_store_dwordx4 v[19:20], v[0:3]
	flat_store_dwordx4 v[21:22], v[8:11]
	flat_store_dwordx4 v[19:20], v[4:7] offset:512
	flat_store_dwordx4 v[21:22], v[12:15] offset:512
.LBB65_6:
	s_endpgm
	.section	.rodata,"a",@progbits
	.p2align	6, 0x0
	.amdhsa_kernel _ZL34rocblas_ger_double_buffered_kernelILb1ELi64ELi16ELi2E19rocblas_complex_numIdE24rocblas_internal_val_ptrIS1_EPKPKS1_PKPS1_EvbiiT4_lT5_lllSC_lllT6_lmli
		.amdhsa_group_segment_fixed_size 0
		.amdhsa_private_segment_fixed_size 0
		.amdhsa_kernarg_size 140
		.amdhsa_user_sgpr_count 6
		.amdhsa_user_sgpr_private_segment_buffer 1
		.amdhsa_user_sgpr_dispatch_ptr 0
		.amdhsa_user_sgpr_queue_ptr 0
		.amdhsa_user_sgpr_kernarg_segment_ptr 1
		.amdhsa_user_sgpr_dispatch_id 0
		.amdhsa_user_sgpr_flat_scratch_init 0
		.amdhsa_user_sgpr_private_segment_size 0
		.amdhsa_uses_dynamic_stack 0
		.amdhsa_system_sgpr_private_segment_wavefront_offset 0
		.amdhsa_system_sgpr_workgroup_id_x 1
		.amdhsa_system_sgpr_workgroup_id_y 1
		.amdhsa_system_sgpr_workgroup_id_z 1
		.amdhsa_system_sgpr_workgroup_info 0
		.amdhsa_system_vgpr_workitem_id 1
		.amdhsa_next_free_vgpr 37
		.amdhsa_next_free_sgpr 28
		.amdhsa_reserve_vcc 1
		.amdhsa_reserve_flat_scratch 0
		.amdhsa_float_round_mode_32 0
		.amdhsa_float_round_mode_16_64 0
		.amdhsa_float_denorm_mode_32 3
		.amdhsa_float_denorm_mode_16_64 3
		.amdhsa_dx10_clamp 1
		.amdhsa_ieee_mode 1
		.amdhsa_fp16_overflow 0
		.amdhsa_exception_fp_ieee_invalid_op 0
		.amdhsa_exception_fp_denorm_src 0
		.amdhsa_exception_fp_ieee_div_zero 0
		.amdhsa_exception_fp_ieee_overflow 0
		.amdhsa_exception_fp_ieee_underflow 0
		.amdhsa_exception_fp_ieee_inexact 0
		.amdhsa_exception_int_div_zero 0
	.end_amdhsa_kernel
	.section	.text._ZL34rocblas_ger_double_buffered_kernelILb1ELi64ELi16ELi2E19rocblas_complex_numIdE24rocblas_internal_val_ptrIS1_EPKPKS1_PKPS1_EvbiiT4_lT5_lllSC_lllT6_lmli,"axG",@progbits,_ZL34rocblas_ger_double_buffered_kernelILb1ELi64ELi16ELi2E19rocblas_complex_numIdE24rocblas_internal_val_ptrIS1_EPKPKS1_PKPS1_EvbiiT4_lT5_lllSC_lllT6_lmli,comdat
.Lfunc_end65:
	.size	_ZL34rocblas_ger_double_buffered_kernelILb1ELi64ELi16ELi2E19rocblas_complex_numIdE24rocblas_internal_val_ptrIS1_EPKPKS1_PKPS1_EvbiiT4_lT5_lllSC_lllT6_lmli, .Lfunc_end65-_ZL34rocblas_ger_double_buffered_kernelILb1ELi64ELi16ELi2E19rocblas_complex_numIdE24rocblas_internal_val_ptrIS1_EPKPKS1_PKPS1_EvbiiT4_lT5_lllSC_lllT6_lmli
                                        ; -- End function
	.set _ZL34rocblas_ger_double_buffered_kernelILb1ELi64ELi16ELi2E19rocblas_complex_numIdE24rocblas_internal_val_ptrIS1_EPKPKS1_PKPS1_EvbiiT4_lT5_lllSC_lllT6_lmli.num_vgpr, 37
	.set _ZL34rocblas_ger_double_buffered_kernelILb1ELi64ELi16ELi2E19rocblas_complex_numIdE24rocblas_internal_val_ptrIS1_EPKPKS1_PKPS1_EvbiiT4_lT5_lllSC_lllT6_lmli.num_agpr, 0
	.set _ZL34rocblas_ger_double_buffered_kernelILb1ELi64ELi16ELi2E19rocblas_complex_numIdE24rocblas_internal_val_ptrIS1_EPKPKS1_PKPS1_EvbiiT4_lT5_lllSC_lllT6_lmli.numbered_sgpr, 28
	.set _ZL34rocblas_ger_double_buffered_kernelILb1ELi64ELi16ELi2E19rocblas_complex_numIdE24rocblas_internal_val_ptrIS1_EPKPKS1_PKPS1_EvbiiT4_lT5_lllSC_lllT6_lmli.num_named_barrier, 0
	.set _ZL34rocblas_ger_double_buffered_kernelILb1ELi64ELi16ELi2E19rocblas_complex_numIdE24rocblas_internal_val_ptrIS1_EPKPKS1_PKPS1_EvbiiT4_lT5_lllSC_lllT6_lmli.private_seg_size, 0
	.set _ZL34rocblas_ger_double_buffered_kernelILb1ELi64ELi16ELi2E19rocblas_complex_numIdE24rocblas_internal_val_ptrIS1_EPKPKS1_PKPS1_EvbiiT4_lT5_lllSC_lllT6_lmli.uses_vcc, 1
	.set _ZL34rocblas_ger_double_buffered_kernelILb1ELi64ELi16ELi2E19rocblas_complex_numIdE24rocblas_internal_val_ptrIS1_EPKPKS1_PKPS1_EvbiiT4_lT5_lllSC_lllT6_lmli.uses_flat_scratch, 0
	.set _ZL34rocblas_ger_double_buffered_kernelILb1ELi64ELi16ELi2E19rocblas_complex_numIdE24rocblas_internal_val_ptrIS1_EPKPKS1_PKPS1_EvbiiT4_lT5_lllSC_lllT6_lmli.has_dyn_sized_stack, 0
	.set _ZL34rocblas_ger_double_buffered_kernelILb1ELi64ELi16ELi2E19rocblas_complex_numIdE24rocblas_internal_val_ptrIS1_EPKPKS1_PKPS1_EvbiiT4_lT5_lllSC_lllT6_lmli.has_recursion, 0
	.set _ZL34rocblas_ger_double_buffered_kernelILb1ELi64ELi16ELi2E19rocblas_complex_numIdE24rocblas_internal_val_ptrIS1_EPKPKS1_PKPS1_EvbiiT4_lT5_lllSC_lllT6_lmli.has_indirect_call, 0
	.section	.AMDGPU.csdata,"",@progbits
; Kernel info:
; codeLenInByte = 1048
; TotalNumSgprs: 32
; NumVgprs: 37
; ScratchSize: 0
; MemoryBound: 0
; FloatMode: 240
; IeeeMode: 1
; LDSByteSize: 0 bytes/workgroup (compile time only)
; SGPRBlocks: 3
; VGPRBlocks: 9
; NumSGPRsForWavesPerEU: 32
; NumVGPRsForWavesPerEU: 37
; Occupancy: 6
; WaveLimiterHint : 1
; COMPUTE_PGM_RSRC2:SCRATCH_EN: 0
; COMPUTE_PGM_RSRC2:USER_SGPR: 6
; COMPUTE_PGM_RSRC2:TRAP_HANDLER: 0
; COMPUTE_PGM_RSRC2:TGID_X_EN: 1
; COMPUTE_PGM_RSRC2:TGID_Y_EN: 1
; COMPUTE_PGM_RSRC2:TGID_Z_EN: 1
; COMPUTE_PGM_RSRC2:TIDIG_COMP_CNT: 1
	.section	.text._ZL18rocblas_ger_kernelILi32ELi32ELi2ELb1E19rocblas_complex_numIdEPKS1_PKS3_PKPS1_EviiT4_lT5_lllSA_lllT6_lmli,"axG",@progbits,_ZL18rocblas_ger_kernelILi32ELi32ELi2ELb1E19rocblas_complex_numIdEPKS1_PKS3_PKPS1_EviiT4_lT5_lllSA_lllT6_lmli,comdat
	.globl	_ZL18rocblas_ger_kernelILi32ELi32ELi2ELb1E19rocblas_complex_numIdEPKS1_PKS3_PKPS1_EviiT4_lT5_lllSA_lllT6_lmli ; -- Begin function _ZL18rocblas_ger_kernelILi32ELi32ELi2ELb1E19rocblas_complex_numIdEPKS1_PKS3_PKPS1_EviiT4_lT5_lllSA_lllT6_lmli
	.p2align	8
	.type	_ZL18rocblas_ger_kernelILi32ELi32ELi2ELb1E19rocblas_complex_numIdEPKS1_PKS3_PKPS1_EviiT4_lT5_lllSA_lllT6_lmli,@function
_ZL18rocblas_ger_kernelILi32ELi32ELi2ELb1E19rocblas_complex_numIdEPKS1_PKS3_PKPS1_EviiT4_lT5_lllSA_lllT6_lmli: ; @_ZL18rocblas_ger_kernelILi32ELi32ELi2ELb1E19rocblas_complex_numIdEPKS1_PKS3_PKPS1_EviiT4_lT5_lllSA_lllT6_lmli
; %bb.0:
	s_load_dwordx2 s[8:9], s[4:5], 0x0
	s_load_dwordx4 s[0:3], s[4:5], 0x8
	s_mov_b32 s10, s7
	s_waitcnt lgkmcnt(0)
	s_add_i32 s7, s8, -1
	s_ashr_i32 s11, s7, 31
	s_lshr_b32 s11, s11, 27
	s_add_i32 s7, s7, s11
	s_mul_i32 s3, s3, s10
	s_mul_hi_u32 s12, s2, s10
	s_ashr_i32 s11, s7, 5
	s_add_i32 s3, s12, s3
	s_mul_i32 s2, s2, s10
	s_add_i32 s7, s11, 1
	s_lshl_b64 s[2:3], s[2:3], 4
	s_add_u32 s12, s0, s2
	s_addc_u32 s13, s1, s3
	s_load_dwordx4 s[0:3], s[12:13], 0x0
	v_cvt_f32_u32_e32 v2, s7
	s_waitcnt lgkmcnt(0)
	v_cmp_neq_f64_e64 s[12:13], s[0:1], 0
	v_cmp_neq_f64_e64 s[14:15], s[2:3], 0
	v_rcp_iflag_f32_e32 v2, v2
	v_mul_f32_e32 v2, 0x4f7ffffe, v2
	v_cvt_u32_f32_e32 v2, v2
	s_or_b64 s[12:13], s[12:13], s[14:15]
	s_andn2_b64 vcc, exec, s[12:13]
	v_readfirstlane_b32 s12, v2
	s_cbranch_vccnz .LBB66_14
; %bb.1:
	s_not_b32 s11, s11
	s_mul_i32 s11, s11, s12
	s_mul_hi_u32 s11, s12, s11
	s_add_i32 s12, s12, s11
	s_mul_hi_u32 s12, s6, s12
	s_mul_i32 s13, s12, s7
	s_sub_i32 s13, s6, s13
	s_add_i32 s16, s12, 1
	s_sub_i32 s17, s13, s7
	s_cmp_ge_u32 s13, s7
	s_cselect_b32 s12, s16, s12
	s_load_dwordx2 s[14:15], s[4:5], 0x58
	s_load_dwordx2 s[20:21], s[4:5], 0x38
	s_cselect_b32 s13, s17, s13
	s_add_i32 s16, s12, 1
	s_cmp_ge_u32 s13, s7
	s_cselect_b32 s18, s16, s12
	s_mov_b32 s11, 0
	s_mul_i32 s7, s18, s7
	s_sub_i32 s12, s6, s7
	s_lshl_b64 s[16:17], s[10:11], 3
	s_waitcnt lgkmcnt(0)
	s_add_u32 s6, s20, s16
	s_addc_u32 s7, s21, s17
	s_add_u32 s10, s14, s16
	s_addc_u32 s11, s15, s17
	s_load_dwordx2 s[6:7], s[6:7], 0x0
	v_lshl_add_u32 v6, s12, 5, v0
	s_load_dwordx2 s[10:11], s[10:11], 0x0
	v_cmp_eq_u32_e32 vcc, 0, v1
	s_and_saveexec_b64 s[12:13], vcc
	s_cbranch_execz .LBB66_5
; %bb.2:
	v_mov_b32_e32 v2, 0
	v_mov_b32_e32 v4, 0
	;; [unrolled: 1-line block ×4, first 2 shown]
	v_cmp_gt_i32_e32 vcc, s8, v6
	s_and_saveexec_b64 s[14:15], vcc
	s_cbranch_execz .LBB66_4
; %bb.3:
	s_load_dwordx2 s[24:25], s[4:5], 0x18
	s_load_dwordx4 s[20:23], s[4:5], 0x20
	v_ashrrev_i32_e32 v2, 31, v6
	s_waitcnt lgkmcnt(0)
	s_add_u32 s16, s24, s16
	s_addc_u32 s17, s25, s17
	v_mul_lo_u32 v4, s23, v6
	v_mul_lo_u32 v5, s22, v2
	v_mad_u64_u32 v[2:3], s[22:23], s22, v6, 0
	s_load_dwordx2 s[16:17], s[16:17], 0x0
	s_lshl_b64 s[20:21], s[20:21], 4
	v_add3_u32 v3, v3, v5, v4
	v_lshlrev_b64 v[2:3], 4, v[2:3]
	s_waitcnt lgkmcnt(0)
	s_add_u32 s16, s16, s20
	s_addc_u32 s17, s17, s21
	v_mov_b32_e32 v4, s17
	v_add_co_u32_e32 v2, vcc, s16, v2
	v_addc_co_u32_e32 v3, vcc, v4, v3, vcc
	flat_load_dwordx4 v[2:5], v[2:3]
.LBB66_4:
	s_or_b64 exec, exec, s[14:15]
	v_lshlrev_b32_e32 v7, 4, v0
	s_waitcnt vmcnt(0) lgkmcnt(0)
	ds_write_b128 v7, v[2:5] offset:1024
.LBB66_5:
	s_or_b64 exec, exec, s[12:13]
	v_lshlrev_b32_e32 v7, 1, v1
	v_lshl_add_u32 v5, s18, 6, v7
	v_cmp_gt_u32_e32 vcc, 2, v0
	s_and_saveexec_b64 s[12:13], vcc
	s_cbranch_execz .LBB66_9
; %bb.6:
	v_or_b32_e32 v8, v5, v0
	v_mov_b32_e32 v1, 0
	v_mov_b32_e32 v3, 0
	;; [unrolled: 1-line block ×4, first 2 shown]
	v_cmp_gt_u32_e32 vcc, s9, v8
	s_and_saveexec_b64 s[14:15], vcc
	s_cbranch_execz .LBB66_8
; %bb.7:
	s_load_dwordx4 s[16:19], s[4:5], 0x40
	s_waitcnt lgkmcnt(0)
	v_mad_u64_u32 v[1:2], s[20:21], s18, v8, 0
	s_lshl_b64 s[16:17], s[16:17], 4
	s_add_u32 s6, s6, s16
	v_mad_u64_u32 v[2:3], s[18:19], s19, v8, v[2:3]
	s_addc_u32 s7, s7, s17
	v_mov_b32_e32 v3, s7
	v_lshlrev_b64 v[1:2], 4, v[1:2]
	v_add_co_u32_e32 v1, vcc, s6, v1
	v_addc_co_u32_e32 v2, vcc, v3, v2, vcc
	flat_load_dwordx4 v[1:4], v[1:2]
.LBB66_8:
	s_or_b64 exec, exec, s[14:15]
	v_lshlrev_b32_e32 v8, 4, v0
	v_lshl_add_u32 v8, v7, 4, v8
	s_waitcnt vmcnt(0) lgkmcnt(0)
	ds_write_b128 v8, v[1:4]
.LBB66_9:
	s_or_b64 exec, exec, s[12:13]
	v_cmp_gt_i32_e32 vcc, s8, v6
	s_waitcnt lgkmcnt(0)
	s_barrier
	s_and_saveexec_b64 s[6:7], vcc
	s_cbranch_execz .LBB66_14
; %bb.10:
	v_lshlrev_b32_e32 v0, 4, v0
	ds_read_b128 v[8:11], v0 offset:1024
	s_load_dwordx4 s[4:7], s[4:5], 0x60
	v_lshlrev_b32_e32 v4, 4, v7
	v_ashrrev_i32_e32 v7, 31, v6
	v_lshlrev_b64 v[6:7], 4, v[6:7]
	s_waitcnt lgkmcnt(0)
	v_mul_f64 v[0:1], s[2:3], v[10:11]
	v_mul_f64 v[2:3], s[0:1], v[10:11]
	s_lshl_b64 s[4:5], s[4:5], 4
	s_add_u32 s4, s10, s4
	s_addc_u32 s5, s11, s5
	v_add_co_u32_e32 v6, vcc, s4, v6
	v_fma_f64 v[0:1], s[0:1], v[8:9], -v[0:1]
	v_fma_f64 v[2:3], s[2:3], v[8:9], v[2:3]
	v_mov_b32_e32 v8, s5
	v_addc_co_u32_e32 v7, vcc, v8, v7, vcc
	v_cmp_gt_i32_e32 vcc, s9, v5
	s_and_saveexec_b64 s[0:1], vcc
	s_cbranch_execz .LBB66_12
; %bb.11:
	ds_read_b128 v[8:11], v4
	v_ashrrev_i32_e32 v16, 31, v5
	v_mul_lo_u32 v17, s7, v5
	v_mad_u64_u32 v[12:13], s[2:3], s6, v5, 0
	v_mul_lo_u32 v16, s6, v16
	s_waitcnt lgkmcnt(0)
	v_mul_f64 v[14:15], v[2:3], v[10:11]
	v_mul_f64 v[10:11], v[0:1], v[10:11]
	v_add3_u32 v13, v13, v16, v17
	v_lshlrev_b64 v[12:13], 4, v[12:13]
	v_add_co_u32_e32 v12, vcc, v6, v12
	v_addc_co_u32_e32 v13, vcc, v7, v13, vcc
	v_fma_f64 v[14:15], v[0:1], v[8:9], v[14:15]
	v_fma_f64 v[16:17], v[2:3], v[8:9], -v[10:11]
	flat_load_dwordx4 v[8:11], v[12:13]
	s_waitcnt vmcnt(0) lgkmcnt(0)
	v_add_f64 v[8:9], v[8:9], v[14:15]
	v_add_f64 v[10:11], v[16:17], v[10:11]
	flat_store_dwordx4 v[12:13], v[8:11]
.LBB66_12:
	s_or_b64 exec, exec, s[0:1]
	v_or_b32_e32 v5, 1, v5
	v_cmp_gt_i32_e32 vcc, s9, v5
	s_and_b64 exec, exec, vcc
	s_cbranch_execz .LBB66_14
; %bb.13:
	v_ashrrev_i32_e32 v10, 31, v5
	v_mul_lo_u32 v11, s7, v5
	v_mad_u64_u32 v[8:9], s[0:1], s6, v5, 0
	v_mul_lo_u32 v5, s6, v10
	v_add3_u32 v9, v9, v5, v11
	v_lshlrev_b64 v[8:9], 4, v[8:9]
	v_add_co_u32_e32 v13, vcc, v6, v8
	v_addc_co_u32_e32 v14, vcc, v7, v9, vcc
	flat_load_dwordx4 v[5:8], v[13:14]
	ds_read_b128 v[9:12], v4 offset:16
	s_waitcnt lgkmcnt(0)
	v_mul_f64 v[15:16], v[2:3], v[11:12]
	v_mul_f64 v[11:12], v[0:1], v[11:12]
	v_fma_f64 v[0:1], v[0:1], v[9:10], v[15:16]
	v_fma_f64 v[2:3], v[2:3], v[9:10], -v[11:12]
	s_waitcnt vmcnt(0)
	v_add_f64 v[0:1], v[5:6], v[0:1]
	v_add_f64 v[2:3], v[2:3], v[7:8]
	flat_store_dwordx4 v[13:14], v[0:3]
.LBB66_14:
	s_endpgm
	.section	.rodata,"a",@progbits
	.p2align	6, 0x0
	.amdhsa_kernel _ZL18rocblas_ger_kernelILi32ELi32ELi2ELb1E19rocblas_complex_numIdEPKS1_PKS3_PKPS1_EviiT4_lT5_lllSA_lllT6_lmli
		.amdhsa_group_segment_fixed_size 1536
		.amdhsa_private_segment_fixed_size 0
		.amdhsa_kernarg_size 124
		.amdhsa_user_sgpr_count 6
		.amdhsa_user_sgpr_private_segment_buffer 1
		.amdhsa_user_sgpr_dispatch_ptr 0
		.amdhsa_user_sgpr_queue_ptr 0
		.amdhsa_user_sgpr_kernarg_segment_ptr 1
		.amdhsa_user_sgpr_dispatch_id 0
		.amdhsa_user_sgpr_flat_scratch_init 0
		.amdhsa_user_sgpr_private_segment_size 0
		.amdhsa_uses_dynamic_stack 0
		.amdhsa_system_sgpr_private_segment_wavefront_offset 0
		.amdhsa_system_sgpr_workgroup_id_x 1
		.amdhsa_system_sgpr_workgroup_id_y 0
		.amdhsa_system_sgpr_workgroup_id_z 1
		.amdhsa_system_sgpr_workgroup_info 0
		.amdhsa_system_vgpr_workitem_id 1
		.amdhsa_next_free_vgpr 18
		.amdhsa_next_free_sgpr 26
		.amdhsa_reserve_vcc 1
		.amdhsa_reserve_flat_scratch 0
		.amdhsa_float_round_mode_32 0
		.amdhsa_float_round_mode_16_64 0
		.amdhsa_float_denorm_mode_32 3
		.amdhsa_float_denorm_mode_16_64 3
		.amdhsa_dx10_clamp 1
		.amdhsa_ieee_mode 1
		.amdhsa_fp16_overflow 0
		.amdhsa_exception_fp_ieee_invalid_op 0
		.amdhsa_exception_fp_denorm_src 0
		.amdhsa_exception_fp_ieee_div_zero 0
		.amdhsa_exception_fp_ieee_overflow 0
		.amdhsa_exception_fp_ieee_underflow 0
		.amdhsa_exception_fp_ieee_inexact 0
		.amdhsa_exception_int_div_zero 0
	.end_amdhsa_kernel
	.section	.text._ZL18rocblas_ger_kernelILi32ELi32ELi2ELb1E19rocblas_complex_numIdEPKS1_PKS3_PKPS1_EviiT4_lT5_lllSA_lllT6_lmli,"axG",@progbits,_ZL18rocblas_ger_kernelILi32ELi32ELi2ELb1E19rocblas_complex_numIdEPKS1_PKS3_PKPS1_EviiT4_lT5_lllSA_lllT6_lmli,comdat
.Lfunc_end66:
	.size	_ZL18rocblas_ger_kernelILi32ELi32ELi2ELb1E19rocblas_complex_numIdEPKS1_PKS3_PKPS1_EviiT4_lT5_lllSA_lllT6_lmli, .Lfunc_end66-_ZL18rocblas_ger_kernelILi32ELi32ELi2ELb1E19rocblas_complex_numIdEPKS1_PKS3_PKPS1_EviiT4_lT5_lllSA_lllT6_lmli
                                        ; -- End function
	.set _ZL18rocblas_ger_kernelILi32ELi32ELi2ELb1E19rocblas_complex_numIdEPKS1_PKS3_PKPS1_EviiT4_lT5_lllSA_lllT6_lmli.num_vgpr, 18
	.set _ZL18rocblas_ger_kernelILi32ELi32ELi2ELb1E19rocblas_complex_numIdEPKS1_PKS3_PKPS1_EviiT4_lT5_lllSA_lllT6_lmli.num_agpr, 0
	.set _ZL18rocblas_ger_kernelILi32ELi32ELi2ELb1E19rocblas_complex_numIdEPKS1_PKS3_PKPS1_EviiT4_lT5_lllSA_lllT6_lmli.numbered_sgpr, 26
	.set _ZL18rocblas_ger_kernelILi32ELi32ELi2ELb1E19rocblas_complex_numIdEPKS1_PKS3_PKPS1_EviiT4_lT5_lllSA_lllT6_lmli.num_named_barrier, 0
	.set _ZL18rocblas_ger_kernelILi32ELi32ELi2ELb1E19rocblas_complex_numIdEPKS1_PKS3_PKPS1_EviiT4_lT5_lllSA_lllT6_lmli.private_seg_size, 0
	.set _ZL18rocblas_ger_kernelILi32ELi32ELi2ELb1E19rocblas_complex_numIdEPKS1_PKS3_PKPS1_EviiT4_lT5_lllSA_lllT6_lmli.uses_vcc, 1
	.set _ZL18rocblas_ger_kernelILi32ELi32ELi2ELb1E19rocblas_complex_numIdEPKS1_PKS3_PKPS1_EviiT4_lT5_lllSA_lllT6_lmli.uses_flat_scratch, 0
	.set _ZL18rocblas_ger_kernelILi32ELi32ELi2ELb1E19rocblas_complex_numIdEPKS1_PKS3_PKPS1_EviiT4_lT5_lllSA_lllT6_lmli.has_dyn_sized_stack, 0
	.set _ZL18rocblas_ger_kernelILi32ELi32ELi2ELb1E19rocblas_complex_numIdEPKS1_PKS3_PKPS1_EviiT4_lT5_lllSA_lllT6_lmli.has_recursion, 0
	.set _ZL18rocblas_ger_kernelILi32ELi32ELi2ELb1E19rocblas_complex_numIdEPKS1_PKS3_PKPS1_EviiT4_lT5_lllSA_lllT6_lmli.has_indirect_call, 0
	.section	.AMDGPU.csdata,"",@progbits
; Kernel info:
; codeLenInByte = 1028
; TotalNumSgprs: 30
; NumVgprs: 18
; ScratchSize: 0
; MemoryBound: 0
; FloatMode: 240
; IeeeMode: 1
; LDSByteSize: 1536 bytes/workgroup (compile time only)
; SGPRBlocks: 3
; VGPRBlocks: 4
; NumSGPRsForWavesPerEU: 30
; NumVGPRsForWavesPerEU: 18
; Occupancy: 10
; WaveLimiterHint : 1
; COMPUTE_PGM_RSRC2:SCRATCH_EN: 0
; COMPUTE_PGM_RSRC2:USER_SGPR: 6
; COMPUTE_PGM_RSRC2:TRAP_HANDLER: 0
; COMPUTE_PGM_RSRC2:TGID_X_EN: 1
; COMPUTE_PGM_RSRC2:TGID_Y_EN: 0
; COMPUTE_PGM_RSRC2:TGID_Z_EN: 1
; COMPUTE_PGM_RSRC2:TIDIG_COMP_CNT: 1
	.section	.text._ZL18rocblas_ger_kernelILi32ELi32ELi2ELb1E19rocblas_complex_numIdES1_PKPKS1_PKPS1_EviiT4_lT5_lllSA_lllT6_lmli,"axG",@progbits,_ZL18rocblas_ger_kernelILi32ELi32ELi2ELb1E19rocblas_complex_numIdES1_PKPKS1_PKPS1_EviiT4_lT5_lllSA_lllT6_lmli,comdat
	.globl	_ZL18rocblas_ger_kernelILi32ELi32ELi2ELb1E19rocblas_complex_numIdES1_PKPKS1_PKPS1_EviiT4_lT5_lllSA_lllT6_lmli ; -- Begin function _ZL18rocblas_ger_kernelILi32ELi32ELi2ELb1E19rocblas_complex_numIdES1_PKPKS1_PKPS1_EviiT4_lT5_lllSA_lllT6_lmli
	.p2align	8
	.type	_ZL18rocblas_ger_kernelILi32ELi32ELi2ELb1E19rocblas_complex_numIdES1_PKPKS1_PKPS1_EviiT4_lT5_lllSA_lllT6_lmli,@function
_ZL18rocblas_ger_kernelILi32ELi32ELi2ELb1E19rocblas_complex_numIdES1_PKPKS1_PKPS1_EviiT4_lT5_lllSA_lllT6_lmli: ; @_ZL18rocblas_ger_kernelILi32ELi32ELi2ELb1E19rocblas_complex_numIdES1_PKPKS1_PKPS1_EviiT4_lT5_lllSA_lllT6_lmli
; %bb.0:
	s_load_dwordx2 s[12:13], s[4:5], 0x0
	s_load_dwordx4 s[0:3], s[4:5], 0x8
	s_mov_b32 s8, s7
	s_waitcnt lgkmcnt(0)
	s_add_i32 s7, s12, -1
	s_ashr_i32 s9, s7, 31
	s_lshr_b32 s9, s9, 27
	s_add_i32 s7, s7, s9
	s_ashr_i32 s9, s7, 5
	s_add_i32 s7, s9, 1
	v_cvt_f32_u32_e32 v2, s7
	v_cmp_neq_f64_e64 s[10:11], s[0:1], 0
	v_cmp_neq_f64_e64 s[14:15], s[2:3], 0
	v_rcp_iflag_f32_e32 v2, v2
	v_mul_f32_e32 v2, 0x4f7ffffe, v2
	v_cvt_u32_f32_e32 v2, v2
	s_or_b64 s[10:11], s[10:11], s[14:15]
	s_andn2_b64 vcc, exec, s[10:11]
	v_readfirstlane_b32 s10, v2
	s_cbranch_vccnz .LBB67_14
; %bb.1:
	s_not_b32 s9, s9
	s_mul_i32 s9, s9, s10
	s_mul_hi_u32 s9, s10, s9
	s_add_i32 s10, s10, s9
	s_mul_hi_u32 s9, s6, s10
	s_mul_i32 s10, s9, s7
	s_sub_i32 s10, s6, s10
	s_add_i32 s11, s9, 1
	s_sub_i32 s16, s10, s7
	s_cmp_ge_u32 s10, s7
	s_cselect_b32 s9, s11, s9
	s_load_dwordx2 s[14:15], s[4:5], 0x60
	s_load_dwordx2 s[20:21], s[4:5], 0x40
	s_cselect_b32 s10, s16, s10
	s_add_i32 s11, s9, 1
	s_cmp_ge_u32 s10, s7
	s_cselect_b32 s18, s11, s9
	s_mul_i32 s7, s18, s7
	s_mov_b32 s9, 0
	s_sub_i32 s10, s6, s7
	s_lshl_b64 s[16:17], s[8:9], 3
	s_waitcnt lgkmcnt(0)
	s_add_u32 s6, s20, s16
	s_addc_u32 s7, s21, s17
	s_load_dwordx2 s[8:9], s[6:7], 0x0
	s_add_u32 s6, s14, s16
	s_addc_u32 s7, s15, s17
	s_load_dwordx2 s[6:7], s[6:7], 0x0
	v_lshl_add_u32 v6, s10, 5, v0
	v_cmp_eq_u32_e32 vcc, 0, v1
	s_and_saveexec_b64 s[10:11], vcc
	s_cbranch_execz .LBB67_5
; %bb.2:
	v_mov_b32_e32 v2, 0
	v_mov_b32_e32 v4, 0
	;; [unrolled: 1-line block ×4, first 2 shown]
	v_cmp_gt_i32_e32 vcc, s12, v6
	s_and_saveexec_b64 s[14:15], vcc
	s_cbranch_execz .LBB67_4
; %bb.3:
	s_load_dwordx2 s[24:25], s[4:5], 0x20
	s_load_dwordx4 s[20:23], s[4:5], 0x28
	v_ashrrev_i32_e32 v2, 31, v6
	s_waitcnt lgkmcnt(0)
	s_add_u32 s16, s24, s16
	s_addc_u32 s17, s25, s17
	v_mul_lo_u32 v4, s23, v6
	v_mul_lo_u32 v5, s22, v2
	v_mad_u64_u32 v[2:3], s[22:23], s22, v6, 0
	s_load_dwordx2 s[16:17], s[16:17], 0x0
	s_lshl_b64 s[20:21], s[20:21], 4
	v_add3_u32 v3, v3, v5, v4
	v_lshlrev_b64 v[2:3], 4, v[2:3]
	s_waitcnt lgkmcnt(0)
	s_add_u32 s16, s16, s20
	s_addc_u32 s17, s17, s21
	v_mov_b32_e32 v4, s17
	v_add_co_u32_e32 v2, vcc, s16, v2
	v_addc_co_u32_e32 v3, vcc, v4, v3, vcc
	flat_load_dwordx4 v[2:5], v[2:3]
.LBB67_4:
	s_or_b64 exec, exec, s[14:15]
	v_lshlrev_b32_e32 v7, 4, v0
	s_waitcnt vmcnt(0) lgkmcnt(0)
	ds_write_b128 v7, v[2:5] offset:1024
.LBB67_5:
	s_or_b64 exec, exec, s[10:11]
	v_lshlrev_b32_e32 v7, 1, v1
	v_lshl_add_u32 v5, s18, 6, v7
	v_cmp_gt_u32_e32 vcc, 2, v0
	s_and_saveexec_b64 s[10:11], vcc
	s_cbranch_execz .LBB67_9
; %bb.6:
	v_or_b32_e32 v8, v5, v0
	v_mov_b32_e32 v1, 0
	v_mov_b32_e32 v3, 0
	;; [unrolled: 1-line block ×4, first 2 shown]
	v_cmp_gt_u32_e32 vcc, s13, v8
	s_and_saveexec_b64 s[14:15], vcc
	s_cbranch_execz .LBB67_8
; %bb.7:
	s_load_dwordx4 s[16:19], s[4:5], 0x48
	s_waitcnt lgkmcnt(0)
	v_mad_u64_u32 v[1:2], s[20:21], s18, v8, 0
	s_lshl_b64 s[16:17], s[16:17], 4
	s_add_u32 s8, s8, s16
	v_mad_u64_u32 v[2:3], s[18:19], s19, v8, v[2:3]
	s_addc_u32 s9, s9, s17
	v_mov_b32_e32 v3, s9
	v_lshlrev_b64 v[1:2], 4, v[1:2]
	v_add_co_u32_e32 v1, vcc, s8, v1
	v_addc_co_u32_e32 v2, vcc, v3, v2, vcc
	flat_load_dwordx4 v[1:4], v[1:2]
.LBB67_8:
	s_or_b64 exec, exec, s[14:15]
	v_lshlrev_b32_e32 v8, 4, v0
	v_lshl_add_u32 v8, v7, 4, v8
	s_waitcnt vmcnt(0) lgkmcnt(0)
	ds_write_b128 v8, v[1:4]
.LBB67_9:
	s_or_b64 exec, exec, s[10:11]
	v_cmp_gt_i32_e32 vcc, s12, v6
	s_waitcnt lgkmcnt(0)
	s_barrier
	s_and_saveexec_b64 s[8:9], vcc
	s_cbranch_execz .LBB67_14
; %bb.10:
	v_lshlrev_b32_e32 v0, 4, v0
	ds_read_b128 v[8:11], v0 offset:1024
	s_load_dwordx4 s[8:11], s[4:5], 0x68
	v_lshlrev_b32_e32 v4, 4, v7
	v_ashrrev_i32_e32 v7, 31, v6
	v_lshlrev_b64 v[6:7], 4, v[6:7]
	s_waitcnt lgkmcnt(0)
	v_mul_f64 v[0:1], s[2:3], v[10:11]
	v_mul_f64 v[2:3], s[0:1], v[10:11]
	s_lshl_b64 s[4:5], s[8:9], 4
	s_add_u32 s4, s6, s4
	s_addc_u32 s5, s7, s5
	v_add_co_u32_e32 v6, vcc, s4, v6
	v_fma_f64 v[0:1], s[0:1], v[8:9], -v[0:1]
	v_fma_f64 v[2:3], s[2:3], v[8:9], v[2:3]
	v_mov_b32_e32 v8, s5
	v_addc_co_u32_e32 v7, vcc, v8, v7, vcc
	v_cmp_gt_i32_e32 vcc, s13, v5
	s_and_saveexec_b64 s[0:1], vcc
	s_cbranch_execz .LBB67_12
; %bb.11:
	ds_read_b128 v[8:11], v4
	v_ashrrev_i32_e32 v16, 31, v5
	v_mul_lo_u32 v17, s11, v5
	v_mad_u64_u32 v[12:13], s[2:3], s10, v5, 0
	v_mul_lo_u32 v16, s10, v16
	s_waitcnt lgkmcnt(0)
	v_mul_f64 v[14:15], v[2:3], v[10:11]
	v_mul_f64 v[10:11], v[0:1], v[10:11]
	v_add3_u32 v13, v13, v16, v17
	v_lshlrev_b64 v[12:13], 4, v[12:13]
	v_add_co_u32_e32 v12, vcc, v6, v12
	v_addc_co_u32_e32 v13, vcc, v7, v13, vcc
	v_fma_f64 v[14:15], v[0:1], v[8:9], v[14:15]
	v_fma_f64 v[16:17], v[2:3], v[8:9], -v[10:11]
	flat_load_dwordx4 v[8:11], v[12:13]
	s_waitcnt vmcnt(0) lgkmcnt(0)
	v_add_f64 v[8:9], v[8:9], v[14:15]
	v_add_f64 v[10:11], v[16:17], v[10:11]
	flat_store_dwordx4 v[12:13], v[8:11]
.LBB67_12:
	s_or_b64 exec, exec, s[0:1]
	v_or_b32_e32 v5, 1, v5
	v_cmp_gt_i32_e32 vcc, s13, v5
	s_and_b64 exec, exec, vcc
	s_cbranch_execz .LBB67_14
; %bb.13:
	v_ashrrev_i32_e32 v10, 31, v5
	v_mul_lo_u32 v11, s11, v5
	v_mad_u64_u32 v[8:9], s[0:1], s10, v5, 0
	v_mul_lo_u32 v5, s10, v10
	v_add3_u32 v9, v9, v5, v11
	v_lshlrev_b64 v[8:9], 4, v[8:9]
	v_add_co_u32_e32 v13, vcc, v6, v8
	v_addc_co_u32_e32 v14, vcc, v7, v9, vcc
	flat_load_dwordx4 v[5:8], v[13:14]
	ds_read_b128 v[9:12], v4 offset:16
	s_waitcnt lgkmcnt(0)
	v_mul_f64 v[15:16], v[2:3], v[11:12]
	v_mul_f64 v[11:12], v[0:1], v[11:12]
	v_fma_f64 v[0:1], v[0:1], v[9:10], v[15:16]
	v_fma_f64 v[2:3], v[2:3], v[9:10], -v[11:12]
	s_waitcnt vmcnt(0)
	v_add_f64 v[0:1], v[5:6], v[0:1]
	v_add_f64 v[2:3], v[2:3], v[7:8]
	flat_store_dwordx4 v[13:14], v[0:3]
.LBB67_14:
	s_endpgm
	.section	.rodata,"a",@progbits
	.p2align	6, 0x0
	.amdhsa_kernel _ZL18rocblas_ger_kernelILi32ELi32ELi2ELb1E19rocblas_complex_numIdES1_PKPKS1_PKPS1_EviiT4_lT5_lllSA_lllT6_lmli
		.amdhsa_group_segment_fixed_size 1536
		.amdhsa_private_segment_fixed_size 0
		.amdhsa_kernarg_size 132
		.amdhsa_user_sgpr_count 6
		.amdhsa_user_sgpr_private_segment_buffer 1
		.amdhsa_user_sgpr_dispatch_ptr 0
		.amdhsa_user_sgpr_queue_ptr 0
		.amdhsa_user_sgpr_kernarg_segment_ptr 1
		.amdhsa_user_sgpr_dispatch_id 0
		.amdhsa_user_sgpr_flat_scratch_init 0
		.amdhsa_user_sgpr_private_segment_size 0
		.amdhsa_uses_dynamic_stack 0
		.amdhsa_system_sgpr_private_segment_wavefront_offset 0
		.amdhsa_system_sgpr_workgroup_id_x 1
		.amdhsa_system_sgpr_workgroup_id_y 0
		.amdhsa_system_sgpr_workgroup_id_z 1
		.amdhsa_system_sgpr_workgroup_info 0
		.amdhsa_system_vgpr_workitem_id 1
		.amdhsa_next_free_vgpr 18
		.amdhsa_next_free_sgpr 26
		.amdhsa_reserve_vcc 1
		.amdhsa_reserve_flat_scratch 0
		.amdhsa_float_round_mode_32 0
		.amdhsa_float_round_mode_16_64 0
		.amdhsa_float_denorm_mode_32 3
		.amdhsa_float_denorm_mode_16_64 3
		.amdhsa_dx10_clamp 1
		.amdhsa_ieee_mode 1
		.amdhsa_fp16_overflow 0
		.amdhsa_exception_fp_ieee_invalid_op 0
		.amdhsa_exception_fp_denorm_src 0
		.amdhsa_exception_fp_ieee_div_zero 0
		.amdhsa_exception_fp_ieee_overflow 0
		.amdhsa_exception_fp_ieee_underflow 0
		.amdhsa_exception_fp_ieee_inexact 0
		.amdhsa_exception_int_div_zero 0
	.end_amdhsa_kernel
	.section	.text._ZL18rocblas_ger_kernelILi32ELi32ELi2ELb1E19rocblas_complex_numIdES1_PKPKS1_PKPS1_EviiT4_lT5_lllSA_lllT6_lmli,"axG",@progbits,_ZL18rocblas_ger_kernelILi32ELi32ELi2ELb1E19rocblas_complex_numIdES1_PKPKS1_PKPS1_EviiT4_lT5_lllSA_lllT6_lmli,comdat
.Lfunc_end67:
	.size	_ZL18rocblas_ger_kernelILi32ELi32ELi2ELb1E19rocblas_complex_numIdES1_PKPKS1_PKPS1_EviiT4_lT5_lllSA_lllT6_lmli, .Lfunc_end67-_ZL18rocblas_ger_kernelILi32ELi32ELi2ELb1E19rocblas_complex_numIdES1_PKPKS1_PKPS1_EviiT4_lT5_lllSA_lllT6_lmli
                                        ; -- End function
	.set _ZL18rocblas_ger_kernelILi32ELi32ELi2ELb1E19rocblas_complex_numIdES1_PKPKS1_PKPS1_EviiT4_lT5_lllSA_lllT6_lmli.num_vgpr, 18
	.set _ZL18rocblas_ger_kernelILi32ELi32ELi2ELb1E19rocblas_complex_numIdES1_PKPKS1_PKPS1_EviiT4_lT5_lllSA_lllT6_lmli.num_agpr, 0
	.set _ZL18rocblas_ger_kernelILi32ELi32ELi2ELb1E19rocblas_complex_numIdES1_PKPKS1_PKPS1_EviiT4_lT5_lllSA_lllT6_lmli.numbered_sgpr, 26
	.set _ZL18rocblas_ger_kernelILi32ELi32ELi2ELb1E19rocblas_complex_numIdES1_PKPKS1_PKPS1_EviiT4_lT5_lllSA_lllT6_lmli.num_named_barrier, 0
	.set _ZL18rocblas_ger_kernelILi32ELi32ELi2ELb1E19rocblas_complex_numIdES1_PKPKS1_PKPS1_EviiT4_lT5_lllSA_lllT6_lmli.private_seg_size, 0
	.set _ZL18rocblas_ger_kernelILi32ELi32ELi2ELb1E19rocblas_complex_numIdES1_PKPKS1_PKPS1_EviiT4_lT5_lllSA_lllT6_lmli.uses_vcc, 1
	.set _ZL18rocblas_ger_kernelILi32ELi32ELi2ELb1E19rocblas_complex_numIdES1_PKPKS1_PKPS1_EviiT4_lT5_lllSA_lllT6_lmli.uses_flat_scratch, 0
	.set _ZL18rocblas_ger_kernelILi32ELi32ELi2ELb1E19rocblas_complex_numIdES1_PKPKS1_PKPS1_EviiT4_lT5_lllSA_lllT6_lmli.has_dyn_sized_stack, 0
	.set _ZL18rocblas_ger_kernelILi32ELi32ELi2ELb1E19rocblas_complex_numIdES1_PKPKS1_PKPS1_EviiT4_lT5_lllSA_lllT6_lmli.has_recursion, 0
	.set _ZL18rocblas_ger_kernelILi32ELi32ELi2ELb1E19rocblas_complex_numIdES1_PKPKS1_PKPS1_EviiT4_lT5_lllSA_lllT6_lmli.has_indirect_call, 0
	.section	.AMDGPU.csdata,"",@progbits
; Kernel info:
; codeLenInByte = 988
; TotalNumSgprs: 30
; NumVgprs: 18
; ScratchSize: 0
; MemoryBound: 0
; FloatMode: 240
; IeeeMode: 1
; LDSByteSize: 1536 bytes/workgroup (compile time only)
; SGPRBlocks: 3
; VGPRBlocks: 4
; NumSGPRsForWavesPerEU: 30
; NumVGPRsForWavesPerEU: 18
; Occupancy: 10
; WaveLimiterHint : 1
; COMPUTE_PGM_RSRC2:SCRATCH_EN: 0
; COMPUTE_PGM_RSRC2:USER_SGPR: 6
; COMPUTE_PGM_RSRC2:TRAP_HANDLER: 0
; COMPUTE_PGM_RSRC2:TGID_X_EN: 1
; COMPUTE_PGM_RSRC2:TGID_Y_EN: 0
; COMPUTE_PGM_RSRC2:TGID_Z_EN: 1
; COMPUTE_PGM_RSRC2:TIDIG_COMP_CNT: 1
	.section	.AMDGPU.gpr_maximums,"",@progbits
	.set amdgpu.max_num_vgpr, 0
	.set amdgpu.max_num_agpr, 0
	.set amdgpu.max_num_sgpr, 0
	.section	.AMDGPU.csdata,"",@progbits
	.type	__hip_cuid_858356ed9d616a49,@object ; @__hip_cuid_858356ed9d616a49
	.section	.bss,"aw",@nobits
	.globl	__hip_cuid_858356ed9d616a49
__hip_cuid_858356ed9d616a49:
	.byte	0                               ; 0x0
	.size	__hip_cuid_858356ed9d616a49, 1

	.ident	"AMD clang version 22.0.0git (https://github.com/RadeonOpenCompute/llvm-project roc-7.2.4 26084 f58b06dce1f9c15707c5f808fd002e18c2accf7e)"
	.section	".note.GNU-stack","",@progbits
	.addrsig
	.addrsig_sym __hip_cuid_858356ed9d616a49
	.amdgpu_metadata
---
amdhsa.kernels:
  - .args:
      - .offset:         0
        .size:           1
        .value_kind:     by_value
      - .offset:         4
        .size:           4
        .value_kind:     by_value
      - .offset:         8
        .size:           4
        .value_kind:     by_value
      - .offset:         16
        .size:           8
        .value_kind:     by_value
      - .offset:         24
        .size:           8
        .value_kind:     by_value
      - .actual_access:  read_only
        .address_space:  global
        .offset:         32
        .size:           8
        .value_kind:     global_buffer
      - .offset:         40
        .size:           8
        .value_kind:     by_value
      - .offset:         48
        .size:           8
        .value_kind:     by_value
      - .offset:         56
        .size:           8
        .value_kind:     by_value
      - .actual_access:  read_only
        .address_space:  global
        .offset:         64
        .size:           8
        .value_kind:     global_buffer
      - .offset:         72
        .size:           8
        .value_kind:     by_value
      - .offset:         80
        .size:           8
        .value_kind:     by_value
      - .offset:         88
        .size:           8
        .value_kind:     by_value
      - .address_space:  global
        .offset:         96
        .size:           8
        .value_kind:     global_buffer
      - .offset:         104
        .size:           8
        .value_kind:     by_value
      - .offset:         112
        .size:           8
        .value_kind:     by_value
      - .offset:         120
        .size:           8
        .value_kind:     by_value
      - .offset:         128
        .size:           4
        .value_kind:     by_value
    .group_segment_fixed_size: 0
    .kernarg_segment_align: 8
    .kernarg_segment_size: 132
    .language:       OpenCL C
    .language_version:
      - 2
      - 0
    .max_flat_workgroup_size: 1024
    .name:           _ZL34rocblas_ger_double_buffered_kernelILb0ELi128ELi8ELi8Ef24rocblas_internal_val_ptrIfEPKfPfEvbiiT4_lT5_lllS6_lllT6_lmli
    .private_segment_fixed_size: 0
    .sgpr_count:     34
    .sgpr_spill_count: 0
    .symbol:         _ZL34rocblas_ger_double_buffered_kernelILb0ELi128ELi8ELi8Ef24rocblas_internal_val_ptrIfEPKfPfEvbiiT4_lT5_lllS6_lllT6_lmli.kd
    .uniform_work_group_size: 1
    .uses_dynamic_stack: false
    .vgpr_count:     40
    .vgpr_spill_count: 0
    .wavefront_size: 64
  - .args:
      - .offset:         0
        .size:           4
        .value_kind:     by_value
      - .offset:         4
        .size:           4
        .value_kind:     by_value
      - .address_space:  global
        .offset:         8
        .size:           8
        .value_kind:     global_buffer
      - .offset:         16
        .size:           8
        .value_kind:     by_value
      - .address_space:  global
        .offset:         24
        .size:           8
        .value_kind:     global_buffer
      - .offset:         32
        .size:           8
        .value_kind:     by_value
      - .offset:         40
        .size:           8
        .value_kind:     by_value
      - .offset:         48
        .size:           8
        .value_kind:     by_value
      - .address_space:  global
        .offset:         56
        .size:           8
        .value_kind:     global_buffer
      - .offset:         64
        .size:           8
        .value_kind:     by_value
      - .offset:         72
        .size:           8
        .value_kind:     by_value
      - .offset:         80
        .size:           8
        .value_kind:     by_value
      - .address_space:  global
        .offset:         88
        .size:           8
        .value_kind:     global_buffer
      - .offset:         96
        .size:           8
        .value_kind:     by_value
      - .offset:         104
        .size:           8
        .value_kind:     by_value
      - .offset:         112
        .size:           8
        .value_kind:     by_value
    .group_segment_fixed_size: 0
    .kernarg_segment_align: 8
    .kernarg_segment_size: 120
    .language:       OpenCL C
    .language_version:
      - 2
      - 0
    .max_flat_workgroup_size: 256
    .name:           _ZL26rocblas_sger_gfx942_kernelILi256EfPKfS1_PfEviiT1_lT2_lllS4_lllT3_lll
    .private_segment_fixed_size: 0
    .sgpr_count:     4
    .sgpr_spill_count: 0
    .symbol:         _ZL26rocblas_sger_gfx942_kernelILi256EfPKfS1_PfEviiT1_lT2_lllS4_lllT3_lll.kd
    .uniform_work_group_size: 1
    .uses_dynamic_stack: false
    .vgpr_count:     0
    .vgpr_spill_count: 0
    .wavefront_size: 64
  - .args:
      - .offset:         0
        .size:           4
        .value_kind:     by_value
      - .offset:         4
        .size:           4
        .value_kind:     by_value
      - .offset:         8
        .size:           4
        .value_kind:     by_value
      - .offset:         16
        .size:           8
        .value_kind:     by_value
      - .address_space:  global
        .offset:         24
        .size:           8
        .value_kind:     global_buffer
      - .offset:         32
        .size:           8
        .value_kind:     by_value
      - .offset:         40
        .size:           8
        .value_kind:     by_value
      - .offset:         48
        .size:           8
        .value_kind:     by_value
      - .address_space:  global
        .offset:         56
        .size:           8
        .value_kind:     global_buffer
      - .offset:         64
        .size:           8
        .value_kind:     by_value
      - .offset:         72
        .size:           8
        .value_kind:     by_value
      - .offset:         80
        .size:           8
        .value_kind:     by_value
      - .address_space:  global
        .offset:         88
        .size:           8
        .value_kind:     global_buffer
      - .offset:         96
        .size:           8
        .value_kind:     by_value
      - .offset:         104
        .size:           8
        .value_kind:     by_value
      - .offset:         112
        .size:           8
        .value_kind:     by_value
    .group_segment_fixed_size: 0
    .kernarg_segment_align: 8
    .kernarg_segment_size: 120
    .language:       OpenCL C
    .language_version:
      - 2
      - 0
    .max_flat_workgroup_size: 256
    .name:           _ZL26rocblas_sger_gfx942_kernelILi256EffPKfPfEviiT1_lT2_lllS4_lllT3_lll
    .private_segment_fixed_size: 0
    .sgpr_count:     4
    .sgpr_spill_count: 0
    .symbol:         _ZL26rocblas_sger_gfx942_kernelILi256EffPKfPfEviiT1_lT2_lllS4_lllT3_lll.kd
    .uniform_work_group_size: 1
    .uses_dynamic_stack: false
    .vgpr_count:     0
    .vgpr_spill_count: 0
    .wavefront_size: 64
  - .args:
      - .offset:         0
        .size:           4
        .value_kind:     by_value
      - .offset:         4
        .size:           4
        .value_kind:     by_value
      - .address_space:  global
        .offset:         8
        .size:           8
        .value_kind:     global_buffer
      - .offset:         16
        .size:           8
        .value_kind:     by_value
      - .actual_access:  read_only
        .address_space:  global
        .offset:         24
        .size:           8
        .value_kind:     global_buffer
      - .offset:         32
        .size:           8
        .value_kind:     by_value
      - .offset:         40
        .size:           8
        .value_kind:     by_value
      - .offset:         48
        .size:           8
        .value_kind:     by_value
      - .actual_access:  read_only
        .address_space:  global
        .offset:         56
        .size:           8
        .value_kind:     global_buffer
      - .offset:         64
        .size:           8
        .value_kind:     by_value
      - .offset:         72
        .size:           8
        .value_kind:     by_value
      - .offset:         80
        .size:           8
        .value_kind:     by_value
      - .address_space:  global
        .offset:         88
        .size:           8
        .value_kind:     global_buffer
      - .offset:         96
        .size:           8
        .value_kind:     by_value
      - .offset:         104
        .size:           8
        .value_kind:     by_value
      - .offset:         112
        .size:           8
        .value_kind:     by_value
      - .offset:         120
        .size:           4
        .value_kind:     by_value
    .group_segment_fixed_size: 0
    .kernarg_segment_align: 8
    .kernarg_segment_size: 124
    .language:       OpenCL C
    .language_version:
      - 2
      - 0
    .max_flat_workgroup_size: 1024
    .name:           _ZL19rocblas_sger_kernelILi1024EfPKfS1_PfEviiT1_lT2_lllS4_lllT3_lmli
    .private_segment_fixed_size: 0
    .sgpr_count:     34
    .sgpr_spill_count: 0
    .symbol:         _ZL19rocblas_sger_kernelILi1024EfPKfS1_PfEviiT1_lT2_lllS4_lllT3_lmli.kd
    .uniform_work_group_size: 1
    .uses_dynamic_stack: false
    .vgpr_count:     9
    .vgpr_spill_count: 0
    .wavefront_size: 64
  - .args:
      - .offset:         0
        .size:           4
        .value_kind:     by_value
      - .offset:         4
        .size:           4
        .value_kind:     by_value
      - .offset:         8
        .size:           4
        .value_kind:     by_value
      - .offset:         16
        .size:           8
        .value_kind:     by_value
      - .actual_access:  read_only
        .address_space:  global
        .offset:         24
        .size:           8
        .value_kind:     global_buffer
      - .offset:         32
        .size:           8
        .value_kind:     by_value
      - .offset:         40
        .size:           8
        .value_kind:     by_value
      - .offset:         48
        .size:           8
        .value_kind:     by_value
      - .actual_access:  read_only
        .address_space:  global
        .offset:         56
        .size:           8
        .value_kind:     global_buffer
      - .offset:         64
        .size:           8
        .value_kind:     by_value
      - .offset:         72
        .size:           8
        .value_kind:     by_value
      - .offset:         80
        .size:           8
        .value_kind:     by_value
      - .address_space:  global
        .offset:         88
        .size:           8
        .value_kind:     global_buffer
      - .offset:         96
        .size:           8
        .value_kind:     by_value
      - .offset:         104
        .size:           8
        .value_kind:     by_value
      - .offset:         112
        .size:           8
        .value_kind:     by_value
      - .offset:         120
        .size:           4
        .value_kind:     by_value
    .group_segment_fixed_size: 0
    .kernarg_segment_align: 8
    .kernarg_segment_size: 124
    .language:       OpenCL C
    .language_version:
      - 2
      - 0
    .max_flat_workgroup_size: 1024
    .name:           _ZL19rocblas_sger_kernelILi1024EffPKfPfEviiT1_lT2_lllS4_lllT3_lmli
    .private_segment_fixed_size: 0
    .sgpr_count:     34
    .sgpr_spill_count: 0
    .symbol:         _ZL19rocblas_sger_kernelILi1024EffPKfPfEviiT1_lT2_lllS4_lllT3_lmli.kd
    .uniform_work_group_size: 1
    .uses_dynamic_stack: false
    .vgpr_count:     9
    .vgpr_spill_count: 0
    .wavefront_size: 64
  - .args:
      - .offset:         0
        .size:           4
        .value_kind:     by_value
      - .offset:         4
        .size:           4
        .value_kind:     by_value
      - .address_space:  global
        .offset:         8
        .size:           8
        .value_kind:     global_buffer
      - .offset:         16
        .size:           8
        .value_kind:     by_value
      - .actual_access:  read_only
        .address_space:  global
        .offset:         24
        .size:           8
        .value_kind:     global_buffer
      - .offset:         32
        .size:           8
        .value_kind:     by_value
      - .offset:         40
        .size:           8
        .value_kind:     by_value
      - .offset:         48
        .size:           8
        .value_kind:     by_value
      - .actual_access:  read_only
        .address_space:  global
        .offset:         56
        .size:           8
        .value_kind:     global_buffer
      - .offset:         64
        .size:           8
        .value_kind:     by_value
      - .offset:         72
        .size:           8
        .value_kind:     by_value
      - .offset:         80
        .size:           8
        .value_kind:     by_value
      - .address_space:  global
        .offset:         88
        .size:           8
        .value_kind:     global_buffer
      - .offset:         96
        .size:           8
        .value_kind:     by_value
      - .offset:         104
        .size:           8
        .value_kind:     by_value
      - .offset:         112
        .size:           8
        .value_kind:     by_value
      - .offset:         120
        .size:           4
        .value_kind:     by_value
    .group_segment_fixed_size: 384
    .kernarg_segment_align: 8
    .kernarg_segment_size: 124
    .language:       OpenCL C
    .language_version:
      - 2
      - 0
    .max_flat_workgroup_size: 1024
    .name:           _ZL18rocblas_ger_kernelILi32ELi32ELi2ELb0EfPKfS1_PfEviiT4_lT5_lllS4_lllT6_lmli
    .private_segment_fixed_size: 0
    .sgpr_count:     28
    .sgpr_spill_count: 0
    .symbol:         _ZL18rocblas_ger_kernelILi32ELi32ELi2ELb0EfPKfS1_PfEviiT4_lT5_lllS4_lllT6_lmli.kd
    .uniform_work_group_size: 1
    .uses_dynamic_stack: false
    .vgpr_count:     9
    .vgpr_spill_count: 0
    .wavefront_size: 64
  - .args:
      - .offset:         0
        .size:           4
        .value_kind:     by_value
      - .offset:         4
        .size:           4
        .value_kind:     by_value
      - .offset:         8
        .size:           4
        .value_kind:     by_value
      - .offset:         16
        .size:           8
        .value_kind:     by_value
      - .actual_access:  read_only
        .address_space:  global
        .offset:         24
        .size:           8
        .value_kind:     global_buffer
      - .offset:         32
        .size:           8
        .value_kind:     by_value
      - .offset:         40
        .size:           8
        .value_kind:     by_value
      - .offset:         48
        .size:           8
        .value_kind:     by_value
      - .actual_access:  read_only
        .address_space:  global
        .offset:         56
        .size:           8
        .value_kind:     global_buffer
      - .offset:         64
        .size:           8
        .value_kind:     by_value
      - .offset:         72
        .size:           8
        .value_kind:     by_value
      - .offset:         80
        .size:           8
        .value_kind:     by_value
      - .address_space:  global
        .offset:         88
        .size:           8
        .value_kind:     global_buffer
      - .offset:         96
        .size:           8
        .value_kind:     by_value
      - .offset:         104
        .size:           8
        .value_kind:     by_value
      - .offset:         112
        .size:           8
        .value_kind:     by_value
      - .offset:         120
        .size:           4
        .value_kind:     by_value
    .group_segment_fixed_size: 384
    .kernarg_segment_align: 8
    .kernarg_segment_size: 124
    .language:       OpenCL C
    .language_version:
      - 2
      - 0
    .max_flat_workgroup_size: 1024
    .name:           _ZL18rocblas_ger_kernelILi32ELi32ELi2ELb0EffPKfPfEviiT4_lT5_lllS4_lllT6_lmli
    .private_segment_fixed_size: 0
    .sgpr_count:     28
    .sgpr_spill_count: 0
    .symbol:         _ZL18rocblas_ger_kernelILi32ELi32ELi2ELb0EffPKfPfEviiT4_lT5_lllS4_lllT6_lmli.kd
    .uniform_work_group_size: 1
    .uses_dynamic_stack: false
    .vgpr_count:     9
    .vgpr_spill_count: 0
    .wavefront_size: 64
  - .args:
      - .offset:         0
        .size:           1
        .value_kind:     by_value
      - .offset:         4
        .size:           4
        .value_kind:     by_value
      - .offset:         8
        .size:           4
        .value_kind:     by_value
      - .offset:         16
        .size:           8
        .value_kind:     by_value
      - .offset:         24
        .size:           8
        .value_kind:     by_value
      - .actual_access:  read_only
        .address_space:  global
        .offset:         32
        .size:           8
        .value_kind:     global_buffer
      - .offset:         40
        .size:           8
        .value_kind:     by_value
      - .offset:         48
        .size:           8
        .value_kind:     by_value
      - .offset:         56
        .size:           8
        .value_kind:     by_value
      - .actual_access:  read_only
        .address_space:  global
        .offset:         64
        .size:           8
        .value_kind:     global_buffer
      - .offset:         72
        .size:           8
        .value_kind:     by_value
      - .offset:         80
        .size:           8
        .value_kind:     by_value
      - .offset:         88
        .size:           8
        .value_kind:     by_value
      - .address_space:  global
        .offset:         96
        .size:           8
        .value_kind:     global_buffer
      - .offset:         104
        .size:           8
        .value_kind:     by_value
      - .offset:         112
        .size:           8
        .value_kind:     by_value
      - .offset:         120
        .size:           8
        .value_kind:     by_value
      - .offset:         128
        .size:           4
        .value_kind:     by_value
    .group_segment_fixed_size: 0
    .kernarg_segment_align: 8
    .kernarg_segment_size: 132
    .language:       OpenCL C
    .language_version:
      - 2
      - 0
    .max_flat_workgroup_size: 1024
    .name:           _ZL34rocblas_ger_double_buffered_kernelILb0ELi64ELi16ELi2Ed24rocblas_internal_val_ptrIdEPKdPdEvbiiT4_lT5_lllS6_lllT6_lmli
    .private_segment_fixed_size: 0
    .sgpr_count:     34
    .sgpr_spill_count: 0
    .symbol:         _ZL34rocblas_ger_double_buffered_kernelILb0ELi64ELi16ELi2Ed24rocblas_internal_val_ptrIdEPKdPdEvbiiT4_lT5_lllS6_lllT6_lmli.kd
    .uniform_work_group_size: 1
    .uses_dynamic_stack: false
    .vgpr_count:     21
    .vgpr_spill_count: 0
    .wavefront_size: 64
  - .args:
      - .offset:         0
        .size:           4
        .value_kind:     by_value
      - .offset:         4
        .size:           4
        .value_kind:     by_value
      - .address_space:  global
        .offset:         8
        .size:           8
        .value_kind:     global_buffer
      - .offset:         16
        .size:           8
        .value_kind:     by_value
      - .address_space:  global
        .offset:         24
        .size:           8
        .value_kind:     global_buffer
      - .offset:         32
        .size:           8
        .value_kind:     by_value
      - .offset:         40
        .size:           8
        .value_kind:     by_value
      - .offset:         48
        .size:           8
        .value_kind:     by_value
      - .address_space:  global
        .offset:         56
        .size:           8
        .value_kind:     global_buffer
      - .offset:         64
        .size:           8
        .value_kind:     by_value
      - .offset:         72
        .size:           8
        .value_kind:     by_value
      - .offset:         80
        .size:           8
        .value_kind:     by_value
      - .address_space:  global
        .offset:         88
        .size:           8
        .value_kind:     global_buffer
      - .offset:         96
        .size:           8
        .value_kind:     by_value
      - .offset:         104
        .size:           8
        .value_kind:     by_value
      - .offset:         112
        .size:           8
        .value_kind:     by_value
    .group_segment_fixed_size: 0
    .kernarg_segment_align: 8
    .kernarg_segment_size: 120
    .language:       OpenCL C
    .language_version:
      - 2
      - 0
    .max_flat_workgroup_size: 256
    .name:           _ZL26rocblas_sger_gfx942_kernelILi256EdPKdS1_PdEviiT1_lT2_lllS4_lllT3_lll
    .private_segment_fixed_size: 0
    .sgpr_count:     4
    .sgpr_spill_count: 0
    .symbol:         _ZL26rocblas_sger_gfx942_kernelILi256EdPKdS1_PdEviiT1_lT2_lllS4_lllT3_lll.kd
    .uniform_work_group_size: 1
    .uses_dynamic_stack: false
    .vgpr_count:     0
    .vgpr_spill_count: 0
    .wavefront_size: 64
  - .args:
      - .offset:         0
        .size:           4
        .value_kind:     by_value
      - .offset:         4
        .size:           4
        .value_kind:     by_value
      - .offset:         8
        .size:           8
        .value_kind:     by_value
      - .offset:         16
        .size:           8
        .value_kind:     by_value
      - .address_space:  global
        .offset:         24
        .size:           8
        .value_kind:     global_buffer
      - .offset:         32
        .size:           8
        .value_kind:     by_value
      - .offset:         40
        .size:           8
        .value_kind:     by_value
      - .offset:         48
        .size:           8
        .value_kind:     by_value
      - .address_space:  global
        .offset:         56
        .size:           8
        .value_kind:     global_buffer
      - .offset:         64
        .size:           8
        .value_kind:     by_value
      - .offset:         72
        .size:           8
        .value_kind:     by_value
      - .offset:         80
        .size:           8
        .value_kind:     by_value
      - .address_space:  global
        .offset:         88
        .size:           8
        .value_kind:     global_buffer
      - .offset:         96
        .size:           8
        .value_kind:     by_value
      - .offset:         104
        .size:           8
        .value_kind:     by_value
      - .offset:         112
        .size:           8
        .value_kind:     by_value
    .group_segment_fixed_size: 0
    .kernarg_segment_align: 8
    .kernarg_segment_size: 120
    .language:       OpenCL C
    .language_version:
      - 2
      - 0
    .max_flat_workgroup_size: 256
    .name:           _ZL26rocblas_sger_gfx942_kernelILi256EddPKdPdEviiT1_lT2_lllS4_lllT3_lll
    .private_segment_fixed_size: 0
    .sgpr_count:     4
    .sgpr_spill_count: 0
    .symbol:         _ZL26rocblas_sger_gfx942_kernelILi256EddPKdPdEviiT1_lT2_lllS4_lllT3_lll.kd
    .uniform_work_group_size: 1
    .uses_dynamic_stack: false
    .vgpr_count:     0
    .vgpr_spill_count: 0
    .wavefront_size: 64
  - .args:
      - .offset:         0
        .size:           4
        .value_kind:     by_value
      - .offset:         4
        .size:           4
        .value_kind:     by_value
      - .address_space:  global
        .offset:         8
        .size:           8
        .value_kind:     global_buffer
      - .offset:         16
        .size:           8
        .value_kind:     by_value
      - .actual_access:  read_only
        .address_space:  global
        .offset:         24
        .size:           8
        .value_kind:     global_buffer
      - .offset:         32
        .size:           8
        .value_kind:     by_value
      - .offset:         40
        .size:           8
        .value_kind:     by_value
      - .offset:         48
        .size:           8
        .value_kind:     by_value
      - .actual_access:  read_only
        .address_space:  global
        .offset:         56
        .size:           8
        .value_kind:     global_buffer
      - .offset:         64
        .size:           8
        .value_kind:     by_value
      - .offset:         72
        .size:           8
        .value_kind:     by_value
      - .offset:         80
        .size:           8
        .value_kind:     by_value
      - .address_space:  global
        .offset:         88
        .size:           8
        .value_kind:     global_buffer
      - .offset:         96
        .size:           8
        .value_kind:     by_value
      - .offset:         104
        .size:           8
        .value_kind:     by_value
      - .offset:         112
        .size:           8
        .value_kind:     by_value
      - .offset:         120
        .size:           4
        .value_kind:     by_value
    .group_segment_fixed_size: 0
    .kernarg_segment_align: 8
    .kernarg_segment_size: 124
    .language:       OpenCL C
    .language_version:
      - 2
      - 0
    .max_flat_workgroup_size: 1024
    .name:           _ZL19rocblas_sger_kernelILi1024EdPKdS1_PdEviiT1_lT2_lllS4_lllT3_lmli
    .private_segment_fixed_size: 0
    .sgpr_count:     36
    .sgpr_spill_count: 0
    .symbol:         _ZL19rocblas_sger_kernelILi1024EdPKdS1_PdEviiT1_lT2_lllS4_lllT3_lmli.kd
    .uniform_work_group_size: 1
    .uses_dynamic_stack: false
    .vgpr_count:     12
    .vgpr_spill_count: 0
    .wavefront_size: 64
  - .args:
      - .offset:         0
        .size:           4
        .value_kind:     by_value
      - .offset:         4
        .size:           4
        .value_kind:     by_value
      - .offset:         8
        .size:           8
        .value_kind:     by_value
      - .offset:         16
        .size:           8
        .value_kind:     by_value
      - .actual_access:  read_only
        .address_space:  global
        .offset:         24
        .size:           8
        .value_kind:     global_buffer
      - .offset:         32
        .size:           8
        .value_kind:     by_value
      - .offset:         40
        .size:           8
        .value_kind:     by_value
      - .offset:         48
        .size:           8
        .value_kind:     by_value
      - .actual_access:  read_only
        .address_space:  global
        .offset:         56
        .size:           8
        .value_kind:     global_buffer
      - .offset:         64
        .size:           8
        .value_kind:     by_value
      - .offset:         72
        .size:           8
        .value_kind:     by_value
      - .offset:         80
        .size:           8
        .value_kind:     by_value
      - .address_space:  global
        .offset:         88
        .size:           8
        .value_kind:     global_buffer
      - .offset:         96
        .size:           8
        .value_kind:     by_value
      - .offset:         104
        .size:           8
        .value_kind:     by_value
      - .offset:         112
        .size:           8
        .value_kind:     by_value
      - .offset:         120
        .size:           4
        .value_kind:     by_value
    .group_segment_fixed_size: 0
    .kernarg_segment_align: 8
    .kernarg_segment_size: 124
    .language:       OpenCL C
    .language_version:
      - 2
      - 0
    .max_flat_workgroup_size: 1024
    .name:           _ZL19rocblas_sger_kernelILi1024EddPKdPdEviiT1_lT2_lllS4_lllT3_lmli
    .private_segment_fixed_size: 0
    .sgpr_count:     36
    .sgpr_spill_count: 0
    .symbol:         _ZL19rocblas_sger_kernelILi1024EddPKdPdEviiT1_lT2_lllS4_lllT3_lmli.kd
    .uniform_work_group_size: 1
    .uses_dynamic_stack: false
    .vgpr_count:     12
    .vgpr_spill_count: 0
    .wavefront_size: 64
  - .args:
      - .offset:         0
        .size:           4
        .value_kind:     by_value
      - .offset:         4
        .size:           4
        .value_kind:     by_value
      - .address_space:  global
        .offset:         8
        .size:           8
        .value_kind:     global_buffer
      - .offset:         16
        .size:           8
        .value_kind:     by_value
      - .actual_access:  read_only
        .address_space:  global
        .offset:         24
        .size:           8
        .value_kind:     global_buffer
      - .offset:         32
        .size:           8
        .value_kind:     by_value
      - .offset:         40
        .size:           8
        .value_kind:     by_value
      - .offset:         48
        .size:           8
        .value_kind:     by_value
      - .actual_access:  read_only
        .address_space:  global
        .offset:         56
        .size:           8
        .value_kind:     global_buffer
      - .offset:         64
        .size:           8
        .value_kind:     by_value
      - .offset:         72
        .size:           8
        .value_kind:     by_value
      - .offset:         80
        .size:           8
        .value_kind:     by_value
      - .address_space:  global
        .offset:         88
        .size:           8
        .value_kind:     global_buffer
      - .offset:         96
        .size:           8
        .value_kind:     by_value
      - .offset:         104
        .size:           8
        .value_kind:     by_value
      - .offset:         112
        .size:           8
        .value_kind:     by_value
      - .offset:         120
        .size:           4
        .value_kind:     by_value
    .group_segment_fixed_size: 768
    .kernarg_segment_align: 8
    .kernarg_segment_size: 124
    .language:       OpenCL C
    .language_version:
      - 2
      - 0
    .max_flat_workgroup_size: 1024
    .name:           _ZL18rocblas_ger_kernelILi32ELi32ELi2ELb0EdPKdS1_PdEviiT4_lT5_lllS4_lllT6_lmli
    .private_segment_fixed_size: 0
    .sgpr_count:     30
    .sgpr_spill_count: 0
    .symbol:         _ZL18rocblas_ger_kernelILi32ELi32ELi2ELb0EdPKdS1_PdEviiT4_lT5_lllS4_lllT6_lmli.kd
    .uniform_work_group_size: 1
    .uses_dynamic_stack: false
    .vgpr_count:     12
    .vgpr_spill_count: 0
    .wavefront_size: 64
  - .args:
      - .offset:         0
        .size:           4
        .value_kind:     by_value
      - .offset:         4
        .size:           4
        .value_kind:     by_value
      - .offset:         8
        .size:           8
        .value_kind:     by_value
      - .offset:         16
        .size:           8
        .value_kind:     by_value
      - .actual_access:  read_only
        .address_space:  global
        .offset:         24
        .size:           8
        .value_kind:     global_buffer
      - .offset:         32
        .size:           8
        .value_kind:     by_value
      - .offset:         40
        .size:           8
        .value_kind:     by_value
      - .offset:         48
        .size:           8
        .value_kind:     by_value
      - .actual_access:  read_only
        .address_space:  global
        .offset:         56
        .size:           8
        .value_kind:     global_buffer
      - .offset:         64
        .size:           8
        .value_kind:     by_value
      - .offset:         72
        .size:           8
        .value_kind:     by_value
      - .offset:         80
        .size:           8
        .value_kind:     by_value
      - .address_space:  global
        .offset:         88
        .size:           8
        .value_kind:     global_buffer
      - .offset:         96
        .size:           8
        .value_kind:     by_value
      - .offset:         104
        .size:           8
        .value_kind:     by_value
      - .offset:         112
        .size:           8
        .value_kind:     by_value
      - .offset:         120
        .size:           4
        .value_kind:     by_value
    .group_segment_fixed_size: 768
    .kernarg_segment_align: 8
    .kernarg_segment_size: 124
    .language:       OpenCL C
    .language_version:
      - 2
      - 0
    .max_flat_workgroup_size: 1024
    .name:           _ZL18rocblas_ger_kernelILi32ELi32ELi2ELb0EddPKdPdEviiT4_lT5_lllS4_lllT6_lmli
    .private_segment_fixed_size: 0
    .sgpr_count:     30
    .sgpr_spill_count: 0
    .symbol:         _ZL18rocblas_ger_kernelILi32ELi32ELi2ELb0EddPKdPdEviiT4_lT5_lllS4_lllT6_lmli.kd
    .uniform_work_group_size: 1
    .uses_dynamic_stack: false
    .vgpr_count:     12
    .vgpr_spill_count: 0
    .wavefront_size: 64
  - .args:
      - .offset:         0
        .size:           1
        .value_kind:     by_value
      - .offset:         4
        .size:           4
        .value_kind:     by_value
      - .offset:         8
        .size:           4
        .value_kind:     by_value
      - .offset:         16
        .size:           8
        .value_kind:     by_value
      - .offset:         24
        .size:           8
        .value_kind:     by_value
      - .actual_access:  read_only
        .address_space:  global
        .offset:         32
        .size:           8
        .value_kind:     global_buffer
      - .offset:         40
        .size:           8
        .value_kind:     by_value
      - .offset:         48
        .size:           8
        .value_kind:     by_value
      - .offset:         56
        .size:           8
        .value_kind:     by_value
      - .actual_access:  read_only
        .address_space:  global
        .offset:         64
        .size:           8
        .value_kind:     global_buffer
      - .offset:         72
        .size:           8
        .value_kind:     by_value
      - .offset:         80
        .size:           8
        .value_kind:     by_value
      - .offset:         88
        .size:           8
        .value_kind:     by_value
      - .address_space:  global
        .offset:         96
        .size:           8
        .value_kind:     global_buffer
      - .offset:         104
        .size:           8
        .value_kind:     by_value
      - .offset:         112
        .size:           8
        .value_kind:     by_value
      - .offset:         120
        .size:           8
        .value_kind:     by_value
      - .offset:         128
        .size:           4
        .value_kind:     by_value
    .group_segment_fixed_size: 0
    .kernarg_segment_align: 8
    .kernarg_segment_size: 132
    .language:       OpenCL C
    .language_version:
      - 2
      - 0
    .max_flat_workgroup_size: 1024
    .name:           _ZL34rocblas_ger_double_buffered_kernelILb0ELi64ELi16ELi2E19rocblas_complex_numIfE24rocblas_internal_val_ptrIS1_EPKS1_PS1_EvbiiT4_lT5_lllS8_lllT6_lmli
    .private_segment_fixed_size: 0
    .sgpr_count:     36
    .sgpr_spill_count: 0
    .symbol:         _ZL34rocblas_ger_double_buffered_kernelILb0ELi64ELi16ELi2E19rocblas_complex_numIfE24rocblas_internal_val_ptrIS1_EPKS1_PS1_EvbiiT4_lT5_lllS8_lllT6_lmli.kd
    .uniform_work_group_size: 1
    .uses_dynamic_stack: false
    .vgpr_count:     21
    .vgpr_spill_count: 0
    .wavefront_size: 64
  - .args:
      - .offset:         0
        .size:           4
        .value_kind:     by_value
      - .offset:         4
        .size:           4
        .value_kind:     by_value
      - .address_space:  global
        .offset:         8
        .size:           8
        .value_kind:     global_buffer
      - .offset:         16
        .size:           8
        .value_kind:     by_value
      - .address_space:  global
        .offset:         24
        .size:           8
        .value_kind:     global_buffer
      - .offset:         32
        .size:           8
        .value_kind:     by_value
      - .offset:         40
        .size:           8
        .value_kind:     by_value
      - .offset:         48
        .size:           8
        .value_kind:     by_value
      - .address_space:  global
        .offset:         56
        .size:           8
        .value_kind:     global_buffer
      - .offset:         64
        .size:           8
        .value_kind:     by_value
      - .offset:         72
        .size:           8
        .value_kind:     by_value
      - .offset:         80
        .size:           8
        .value_kind:     by_value
      - .address_space:  global
        .offset:         88
        .size:           8
        .value_kind:     global_buffer
      - .offset:         96
        .size:           8
        .value_kind:     by_value
      - .offset:         104
        .size:           8
        .value_kind:     by_value
      - .offset:         112
        .size:           8
        .value_kind:     by_value
    .group_segment_fixed_size: 0
    .kernarg_segment_align: 8
    .kernarg_segment_size: 120
    .language:       OpenCL C
    .language_version:
      - 2
      - 0
    .max_flat_workgroup_size: 256
    .name:           _ZL26rocblas_sger_gfx942_kernelILi256E19rocblas_complex_numIfEPKS1_S3_PS1_EviiT1_lT2_lllS6_lllT3_lll
    .private_segment_fixed_size: 0
    .sgpr_count:     4
    .sgpr_spill_count: 0
    .symbol:         _ZL26rocblas_sger_gfx942_kernelILi256E19rocblas_complex_numIfEPKS1_S3_PS1_EviiT1_lT2_lllS6_lllT3_lll.kd
    .uniform_work_group_size: 1
    .uses_dynamic_stack: false
    .vgpr_count:     0
    .vgpr_spill_count: 0
    .wavefront_size: 64
  - .args:
      - .offset:         0
        .size:           4
        .value_kind:     by_value
      - .offset:         4
        .size:           4
        .value_kind:     by_value
      - .offset:         8
        .size:           8
        .value_kind:     by_value
      - .offset:         16
        .size:           8
        .value_kind:     by_value
      - .address_space:  global
        .offset:         24
        .size:           8
        .value_kind:     global_buffer
      - .offset:         32
        .size:           8
        .value_kind:     by_value
      - .offset:         40
        .size:           8
        .value_kind:     by_value
      - .offset:         48
        .size:           8
        .value_kind:     by_value
      - .address_space:  global
        .offset:         56
        .size:           8
        .value_kind:     global_buffer
      - .offset:         64
        .size:           8
        .value_kind:     by_value
      - .offset:         72
        .size:           8
        .value_kind:     by_value
      - .offset:         80
        .size:           8
        .value_kind:     by_value
      - .address_space:  global
        .offset:         88
        .size:           8
        .value_kind:     global_buffer
      - .offset:         96
        .size:           8
        .value_kind:     by_value
      - .offset:         104
        .size:           8
        .value_kind:     by_value
      - .offset:         112
        .size:           8
        .value_kind:     by_value
    .group_segment_fixed_size: 0
    .kernarg_segment_align: 8
    .kernarg_segment_size: 120
    .language:       OpenCL C
    .language_version:
      - 2
      - 0
    .max_flat_workgroup_size: 256
    .name:           _ZL26rocblas_sger_gfx942_kernelILi256E19rocblas_complex_numIfES1_PKS1_PS1_EviiT1_lT2_lllS6_lllT3_lll
    .private_segment_fixed_size: 0
    .sgpr_count:     4
    .sgpr_spill_count: 0
    .symbol:         _ZL26rocblas_sger_gfx942_kernelILi256E19rocblas_complex_numIfES1_PKS1_PS1_EviiT1_lT2_lllS6_lllT3_lll.kd
    .uniform_work_group_size: 1
    .uses_dynamic_stack: false
    .vgpr_count:     0
    .vgpr_spill_count: 0
    .wavefront_size: 64
  - .args:
      - .offset:         0
        .size:           4
        .value_kind:     by_value
      - .offset:         4
        .size:           4
        .value_kind:     by_value
      - .address_space:  global
        .offset:         8
        .size:           8
        .value_kind:     global_buffer
      - .offset:         16
        .size:           8
        .value_kind:     by_value
      - .actual_access:  read_only
        .address_space:  global
        .offset:         24
        .size:           8
        .value_kind:     global_buffer
      - .offset:         32
        .size:           8
        .value_kind:     by_value
      - .offset:         40
        .size:           8
        .value_kind:     by_value
      - .offset:         48
        .size:           8
        .value_kind:     by_value
      - .actual_access:  read_only
        .address_space:  global
        .offset:         56
        .size:           8
        .value_kind:     global_buffer
      - .offset:         64
        .size:           8
        .value_kind:     by_value
      - .offset:         72
        .size:           8
        .value_kind:     by_value
      - .offset:         80
        .size:           8
        .value_kind:     by_value
      - .address_space:  global
        .offset:         88
        .size:           8
        .value_kind:     global_buffer
      - .offset:         96
        .size:           8
        .value_kind:     by_value
      - .offset:         104
        .size:           8
        .value_kind:     by_value
      - .offset:         112
        .size:           8
        .value_kind:     by_value
      - .offset:         120
        .size:           4
        .value_kind:     by_value
    .group_segment_fixed_size: 0
    .kernarg_segment_align: 8
    .kernarg_segment_size: 124
    .language:       OpenCL C
    .language_version:
      - 2
      - 0
    .max_flat_workgroup_size: 1024
    .name:           _ZL19rocblas_sger_kernelILi1024E19rocblas_complex_numIfEPKS1_S3_PS1_EviiT1_lT2_lllS6_lllT3_lmli
    .private_segment_fixed_size: 0
    .sgpr_count:     31
    .sgpr_spill_count: 0
    .symbol:         _ZL19rocblas_sger_kernelILi1024E19rocblas_complex_numIfEPKS1_S3_PS1_EviiT1_lT2_lllS6_lllT3_lmli.kd
    .uniform_work_group_size: 1
    .uses_dynamic_stack: false
    .vgpr_count:     13
    .vgpr_spill_count: 0
    .wavefront_size: 64
  - .args:
      - .offset:         0
        .size:           4
        .value_kind:     by_value
      - .offset:         4
        .size:           4
        .value_kind:     by_value
      - .offset:         8
        .size:           8
        .value_kind:     by_value
      - .offset:         16
        .size:           8
        .value_kind:     by_value
      - .actual_access:  read_only
        .address_space:  global
        .offset:         24
        .size:           8
        .value_kind:     global_buffer
      - .offset:         32
        .size:           8
        .value_kind:     by_value
      - .offset:         40
        .size:           8
        .value_kind:     by_value
      - .offset:         48
        .size:           8
        .value_kind:     by_value
      - .actual_access:  read_only
        .address_space:  global
        .offset:         56
        .size:           8
        .value_kind:     global_buffer
      - .offset:         64
        .size:           8
        .value_kind:     by_value
      - .offset:         72
        .size:           8
        .value_kind:     by_value
      - .offset:         80
        .size:           8
        .value_kind:     by_value
      - .address_space:  global
        .offset:         88
        .size:           8
        .value_kind:     global_buffer
      - .offset:         96
        .size:           8
        .value_kind:     by_value
      - .offset:         104
        .size:           8
        .value_kind:     by_value
      - .offset:         112
        .size:           8
        .value_kind:     by_value
      - .offset:         120
        .size:           4
        .value_kind:     by_value
    .group_segment_fixed_size: 0
    .kernarg_segment_align: 8
    .kernarg_segment_size: 124
    .language:       OpenCL C
    .language_version:
      - 2
      - 0
    .max_flat_workgroup_size: 1024
    .name:           _ZL19rocblas_sger_kernelILi1024E19rocblas_complex_numIfES1_PKS1_PS1_EviiT1_lT2_lllS6_lllT3_lmli
    .private_segment_fixed_size: 0
    .sgpr_count:     31
    .sgpr_spill_count: 0
    .symbol:         _ZL19rocblas_sger_kernelILi1024E19rocblas_complex_numIfES1_PKS1_PS1_EviiT1_lT2_lllS6_lllT3_lmli.kd
    .uniform_work_group_size: 1
    .uses_dynamic_stack: false
    .vgpr_count:     13
    .vgpr_spill_count: 0
    .wavefront_size: 64
  - .args:
      - .offset:         0
        .size:           4
        .value_kind:     by_value
      - .offset:         4
        .size:           4
        .value_kind:     by_value
      - .address_space:  global
        .offset:         8
        .size:           8
        .value_kind:     global_buffer
      - .offset:         16
        .size:           8
        .value_kind:     by_value
      - .actual_access:  read_only
        .address_space:  global
        .offset:         24
        .size:           8
        .value_kind:     global_buffer
      - .offset:         32
        .size:           8
        .value_kind:     by_value
      - .offset:         40
        .size:           8
        .value_kind:     by_value
      - .offset:         48
        .size:           8
        .value_kind:     by_value
      - .actual_access:  read_only
        .address_space:  global
        .offset:         56
        .size:           8
        .value_kind:     global_buffer
      - .offset:         64
        .size:           8
        .value_kind:     by_value
      - .offset:         72
        .size:           8
        .value_kind:     by_value
      - .offset:         80
        .size:           8
        .value_kind:     by_value
      - .address_space:  global
        .offset:         88
        .size:           8
        .value_kind:     global_buffer
      - .offset:         96
        .size:           8
        .value_kind:     by_value
      - .offset:         104
        .size:           8
        .value_kind:     by_value
      - .offset:         112
        .size:           8
        .value_kind:     by_value
      - .offset:         120
        .size:           4
        .value_kind:     by_value
    .group_segment_fixed_size: 768
    .kernarg_segment_align: 8
    .kernarg_segment_size: 124
    .language:       OpenCL C
    .language_version:
      - 2
      - 0
    .max_flat_workgroup_size: 1024
    .name:           _ZL18rocblas_ger_kernelILi32ELi32ELi2ELb0E19rocblas_complex_numIfEPKS1_S3_PS1_EviiT4_lT5_lllS6_lllT6_lmli
    .private_segment_fixed_size: 0
    .sgpr_count:     30
    .sgpr_spill_count: 0
    .symbol:         _ZL18rocblas_ger_kernelILi32ELi32ELi2ELb0E19rocblas_complex_numIfEPKS1_S3_PS1_EviiT4_lT5_lllS6_lllT6_lmli.kd
    .uniform_work_group_size: 1
    .uses_dynamic_stack: false
    .vgpr_count:     13
    .vgpr_spill_count: 0
    .wavefront_size: 64
  - .args:
      - .offset:         0
        .size:           4
        .value_kind:     by_value
      - .offset:         4
        .size:           4
        .value_kind:     by_value
      - .offset:         8
        .size:           8
        .value_kind:     by_value
      - .offset:         16
        .size:           8
        .value_kind:     by_value
      - .actual_access:  read_only
        .address_space:  global
        .offset:         24
        .size:           8
        .value_kind:     global_buffer
      - .offset:         32
        .size:           8
        .value_kind:     by_value
      - .offset:         40
        .size:           8
        .value_kind:     by_value
      - .offset:         48
        .size:           8
        .value_kind:     by_value
      - .actual_access:  read_only
        .address_space:  global
        .offset:         56
        .size:           8
        .value_kind:     global_buffer
      - .offset:         64
        .size:           8
        .value_kind:     by_value
      - .offset:         72
        .size:           8
        .value_kind:     by_value
      - .offset:         80
        .size:           8
        .value_kind:     by_value
      - .address_space:  global
        .offset:         88
        .size:           8
        .value_kind:     global_buffer
      - .offset:         96
        .size:           8
        .value_kind:     by_value
      - .offset:         104
        .size:           8
        .value_kind:     by_value
      - .offset:         112
        .size:           8
        .value_kind:     by_value
      - .offset:         120
        .size:           4
        .value_kind:     by_value
    .group_segment_fixed_size: 768
    .kernarg_segment_align: 8
    .kernarg_segment_size: 124
    .language:       OpenCL C
    .language_version:
      - 2
      - 0
    .max_flat_workgroup_size: 1024
    .name:           _ZL18rocblas_ger_kernelILi32ELi32ELi2ELb0E19rocblas_complex_numIfES1_PKS1_PS1_EviiT4_lT5_lllS6_lllT6_lmli
    .private_segment_fixed_size: 0
    .sgpr_count:     30
    .sgpr_spill_count: 0
    .symbol:         _ZL18rocblas_ger_kernelILi32ELi32ELi2ELb0E19rocblas_complex_numIfES1_PKS1_PS1_EviiT4_lT5_lllS6_lllT6_lmli.kd
    .uniform_work_group_size: 1
    .uses_dynamic_stack: false
    .vgpr_count:     13
    .vgpr_spill_count: 0
    .wavefront_size: 64
  - .args:
      - .offset:         0
        .size:           1
        .value_kind:     by_value
      - .offset:         4
        .size:           4
        .value_kind:     by_value
      - .offset:         8
        .size:           4
        .value_kind:     by_value
      - .offset:         16
        .size:           16
        .value_kind:     by_value
      - .offset:         32
        .size:           8
        .value_kind:     by_value
      - .actual_access:  read_only
        .address_space:  global
        .offset:         40
        .size:           8
        .value_kind:     global_buffer
      - .offset:         48
        .size:           8
        .value_kind:     by_value
      - .offset:         56
        .size:           8
        .value_kind:     by_value
      - .offset:         64
        .size:           8
        .value_kind:     by_value
      - .actual_access:  read_only
        .address_space:  global
        .offset:         72
        .size:           8
        .value_kind:     global_buffer
      - .offset:         80
        .size:           8
        .value_kind:     by_value
      - .offset:         88
        .size:           8
        .value_kind:     by_value
      - .offset:         96
        .size:           8
        .value_kind:     by_value
      - .address_space:  global
        .offset:         104
        .size:           8
        .value_kind:     global_buffer
      - .offset:         112
        .size:           8
        .value_kind:     by_value
      - .offset:         120
        .size:           8
        .value_kind:     by_value
      - .offset:         128
        .size:           8
        .value_kind:     by_value
      - .offset:         136
        .size:           4
        .value_kind:     by_value
    .group_segment_fixed_size: 0
    .kernarg_segment_align: 8
    .kernarg_segment_size: 140
    .language:       OpenCL C
    .language_version:
      - 2
      - 0
    .max_flat_workgroup_size: 1024
    .name:           _ZL34rocblas_ger_double_buffered_kernelILb0ELi64ELi16ELi2E19rocblas_complex_numIdE24rocblas_internal_val_ptrIS1_EPKS1_PS1_EvbiiT4_lT5_lllS8_lllT6_lmli
    .private_segment_fixed_size: 0
    .sgpr_count:     40
    .sgpr_spill_count: 0
    .symbol:         _ZL34rocblas_ger_double_buffered_kernelILb0ELi64ELi16ELi2E19rocblas_complex_numIdE24rocblas_internal_val_ptrIS1_EPKS1_PS1_EvbiiT4_lT5_lllS8_lllT6_lmli.kd
    .uniform_work_group_size: 1
    .uses_dynamic_stack: false
    .vgpr_count:     28
    .vgpr_spill_count: 0
    .wavefront_size: 64
  - .args:
      - .offset:         0
        .size:           4
        .value_kind:     by_value
      - .offset:         4
        .size:           4
        .value_kind:     by_value
      - .address_space:  global
        .offset:         8
        .size:           8
        .value_kind:     global_buffer
      - .offset:         16
        .size:           8
        .value_kind:     by_value
      - .address_space:  global
        .offset:         24
        .size:           8
        .value_kind:     global_buffer
      - .offset:         32
        .size:           8
        .value_kind:     by_value
      - .offset:         40
        .size:           8
        .value_kind:     by_value
      - .offset:         48
        .size:           8
        .value_kind:     by_value
      - .address_space:  global
        .offset:         56
        .size:           8
        .value_kind:     global_buffer
      - .offset:         64
        .size:           8
        .value_kind:     by_value
      - .offset:         72
        .size:           8
        .value_kind:     by_value
      - .offset:         80
        .size:           8
        .value_kind:     by_value
      - .address_space:  global
        .offset:         88
        .size:           8
        .value_kind:     global_buffer
      - .offset:         96
        .size:           8
        .value_kind:     by_value
      - .offset:         104
        .size:           8
        .value_kind:     by_value
      - .offset:         112
        .size:           8
        .value_kind:     by_value
    .group_segment_fixed_size: 0
    .kernarg_segment_align: 8
    .kernarg_segment_size: 120
    .language:       OpenCL C
    .language_version:
      - 2
      - 0
    .max_flat_workgroup_size: 256
    .name:           _ZL26rocblas_sger_gfx942_kernelILi256E19rocblas_complex_numIdEPKS1_S3_PS1_EviiT1_lT2_lllS6_lllT3_lll
    .private_segment_fixed_size: 0
    .sgpr_count:     4
    .sgpr_spill_count: 0
    .symbol:         _ZL26rocblas_sger_gfx942_kernelILi256E19rocblas_complex_numIdEPKS1_S3_PS1_EviiT1_lT2_lllS6_lllT3_lll.kd
    .uniform_work_group_size: 1
    .uses_dynamic_stack: false
    .vgpr_count:     0
    .vgpr_spill_count: 0
    .wavefront_size: 64
  - .args:
      - .offset:         0
        .size:           4
        .value_kind:     by_value
      - .offset:         4
        .size:           4
        .value_kind:     by_value
      - .offset:         8
        .size:           16
        .value_kind:     by_value
      - .offset:         24
        .size:           8
        .value_kind:     by_value
      - .address_space:  global
        .offset:         32
        .size:           8
        .value_kind:     global_buffer
      - .offset:         40
        .size:           8
        .value_kind:     by_value
      - .offset:         48
        .size:           8
        .value_kind:     by_value
      - .offset:         56
        .size:           8
        .value_kind:     by_value
      - .address_space:  global
        .offset:         64
        .size:           8
        .value_kind:     global_buffer
      - .offset:         72
        .size:           8
        .value_kind:     by_value
      - .offset:         80
        .size:           8
        .value_kind:     by_value
      - .offset:         88
        .size:           8
        .value_kind:     by_value
      - .address_space:  global
        .offset:         96
        .size:           8
        .value_kind:     global_buffer
      - .offset:         104
        .size:           8
        .value_kind:     by_value
      - .offset:         112
        .size:           8
        .value_kind:     by_value
      - .offset:         120
        .size:           8
        .value_kind:     by_value
    .group_segment_fixed_size: 0
    .kernarg_segment_align: 8
    .kernarg_segment_size: 128
    .language:       OpenCL C
    .language_version:
      - 2
      - 0
    .max_flat_workgroup_size: 256
    .name:           _ZL26rocblas_sger_gfx942_kernelILi256E19rocblas_complex_numIdES1_PKS1_PS1_EviiT1_lT2_lllS6_lllT3_lll
    .private_segment_fixed_size: 0
    .sgpr_count:     4
    .sgpr_spill_count: 0
    .symbol:         _ZL26rocblas_sger_gfx942_kernelILi256E19rocblas_complex_numIdES1_PKS1_PS1_EviiT1_lT2_lllS6_lllT3_lll.kd
    .uniform_work_group_size: 1
    .uses_dynamic_stack: false
    .vgpr_count:     0
    .vgpr_spill_count: 0
    .wavefront_size: 64
  - .args:
      - .offset:         0
        .size:           4
        .value_kind:     by_value
      - .offset:         4
        .size:           4
        .value_kind:     by_value
      - .address_space:  global
        .offset:         8
        .size:           8
        .value_kind:     global_buffer
      - .offset:         16
        .size:           8
        .value_kind:     by_value
      - .actual_access:  read_only
        .address_space:  global
        .offset:         24
        .size:           8
        .value_kind:     global_buffer
      - .offset:         32
        .size:           8
        .value_kind:     by_value
      - .offset:         40
        .size:           8
        .value_kind:     by_value
      - .offset:         48
        .size:           8
        .value_kind:     by_value
      - .actual_access:  read_only
        .address_space:  global
        .offset:         56
        .size:           8
        .value_kind:     global_buffer
      - .offset:         64
        .size:           8
        .value_kind:     by_value
      - .offset:         72
        .size:           8
        .value_kind:     by_value
      - .offset:         80
        .size:           8
        .value_kind:     by_value
      - .address_space:  global
        .offset:         88
        .size:           8
        .value_kind:     global_buffer
      - .offset:         96
        .size:           8
        .value_kind:     by_value
      - .offset:         104
        .size:           8
        .value_kind:     by_value
      - .offset:         112
        .size:           8
        .value_kind:     by_value
      - .offset:         120
        .size:           4
        .value_kind:     by_value
    .group_segment_fixed_size: 0
    .kernarg_segment_align: 8
    .kernarg_segment_size: 124
    .language:       OpenCL C
    .language_version:
      - 2
      - 0
    .max_flat_workgroup_size: 1024
    .name:           _ZL19rocblas_sger_kernelILi1024E19rocblas_complex_numIdEPKS1_S3_PS1_EviiT1_lT2_lllS6_lllT3_lmli
    .private_segment_fixed_size: 0
    .sgpr_count:     36
    .sgpr_spill_count: 0
    .symbol:         _ZL19rocblas_sger_kernelILi1024E19rocblas_complex_numIdEPKS1_S3_PS1_EviiT1_lT2_lllS6_lllT3_lmli.kd
    .uniform_work_group_size: 1
    .uses_dynamic_stack: false
    .vgpr_count:     18
    .vgpr_spill_count: 0
    .wavefront_size: 64
  - .args:
      - .offset:         0
        .size:           4
        .value_kind:     by_value
      - .offset:         4
        .size:           4
        .value_kind:     by_value
      - .offset:         8
        .size:           16
        .value_kind:     by_value
      - .offset:         24
        .size:           8
        .value_kind:     by_value
      - .actual_access:  read_only
        .address_space:  global
        .offset:         32
        .size:           8
        .value_kind:     global_buffer
      - .offset:         40
        .size:           8
        .value_kind:     by_value
      - .offset:         48
        .size:           8
        .value_kind:     by_value
      - .offset:         56
        .size:           8
        .value_kind:     by_value
      - .actual_access:  read_only
        .address_space:  global
        .offset:         64
        .size:           8
        .value_kind:     global_buffer
      - .offset:         72
        .size:           8
        .value_kind:     by_value
      - .offset:         80
        .size:           8
        .value_kind:     by_value
      - .offset:         88
        .size:           8
        .value_kind:     by_value
      - .address_space:  global
        .offset:         96
        .size:           8
        .value_kind:     global_buffer
      - .offset:         104
        .size:           8
        .value_kind:     by_value
      - .offset:         112
        .size:           8
        .value_kind:     by_value
      - .offset:         120
        .size:           8
        .value_kind:     by_value
      - .offset:         128
        .size:           4
        .value_kind:     by_value
    .group_segment_fixed_size: 0
    .kernarg_segment_align: 8
    .kernarg_segment_size: 132
    .language:       OpenCL C
    .language_version:
      - 2
      - 0
    .max_flat_workgroup_size: 1024
    .name:           _ZL19rocblas_sger_kernelILi1024E19rocblas_complex_numIdES1_PKS1_PS1_EviiT1_lT2_lllS6_lllT3_lmli
    .private_segment_fixed_size: 0
    .sgpr_count:     36
    .sgpr_spill_count: 0
    .symbol:         _ZL19rocblas_sger_kernelILi1024E19rocblas_complex_numIdES1_PKS1_PS1_EviiT1_lT2_lllS6_lllT3_lmli.kd
    .uniform_work_group_size: 1
    .uses_dynamic_stack: false
    .vgpr_count:     18
    .vgpr_spill_count: 0
    .wavefront_size: 64
  - .args:
      - .offset:         0
        .size:           4
        .value_kind:     by_value
      - .offset:         4
        .size:           4
        .value_kind:     by_value
      - .address_space:  global
        .offset:         8
        .size:           8
        .value_kind:     global_buffer
      - .offset:         16
        .size:           8
        .value_kind:     by_value
      - .actual_access:  read_only
        .address_space:  global
        .offset:         24
        .size:           8
        .value_kind:     global_buffer
      - .offset:         32
        .size:           8
        .value_kind:     by_value
      - .offset:         40
        .size:           8
        .value_kind:     by_value
      - .offset:         48
        .size:           8
        .value_kind:     by_value
      - .actual_access:  read_only
        .address_space:  global
        .offset:         56
        .size:           8
        .value_kind:     global_buffer
      - .offset:         64
        .size:           8
        .value_kind:     by_value
      - .offset:         72
        .size:           8
        .value_kind:     by_value
      - .offset:         80
        .size:           8
        .value_kind:     by_value
      - .address_space:  global
        .offset:         88
        .size:           8
        .value_kind:     global_buffer
      - .offset:         96
        .size:           8
        .value_kind:     by_value
      - .offset:         104
        .size:           8
        .value_kind:     by_value
      - .offset:         112
        .size:           8
        .value_kind:     by_value
      - .offset:         120
        .size:           4
        .value_kind:     by_value
    .group_segment_fixed_size: 1536
    .kernarg_segment_align: 8
    .kernarg_segment_size: 124
    .language:       OpenCL C
    .language_version:
      - 2
      - 0
    .max_flat_workgroup_size: 1024
    .name:           _ZL18rocblas_ger_kernelILi32ELi32ELi2ELb0E19rocblas_complex_numIdEPKS1_S3_PS1_EviiT4_lT5_lllS6_lllT6_lmli
    .private_segment_fixed_size: 0
    .sgpr_count:     32
    .sgpr_spill_count: 0
    .symbol:         _ZL18rocblas_ger_kernelILi32ELi32ELi2ELb0E19rocblas_complex_numIdEPKS1_S3_PS1_EviiT4_lT5_lllS6_lllT6_lmli.kd
    .uniform_work_group_size: 1
    .uses_dynamic_stack: false
    .vgpr_count:     18
    .vgpr_spill_count: 0
    .wavefront_size: 64
  - .args:
      - .offset:         0
        .size:           4
        .value_kind:     by_value
      - .offset:         4
        .size:           4
        .value_kind:     by_value
      - .offset:         8
        .size:           16
        .value_kind:     by_value
      - .offset:         24
        .size:           8
        .value_kind:     by_value
      - .actual_access:  read_only
        .address_space:  global
        .offset:         32
        .size:           8
        .value_kind:     global_buffer
      - .offset:         40
        .size:           8
        .value_kind:     by_value
      - .offset:         48
        .size:           8
        .value_kind:     by_value
      - .offset:         56
        .size:           8
        .value_kind:     by_value
      - .actual_access:  read_only
        .address_space:  global
        .offset:         64
        .size:           8
        .value_kind:     global_buffer
      - .offset:         72
        .size:           8
        .value_kind:     by_value
      - .offset:         80
        .size:           8
        .value_kind:     by_value
      - .offset:         88
        .size:           8
        .value_kind:     by_value
      - .address_space:  global
        .offset:         96
        .size:           8
        .value_kind:     global_buffer
      - .offset:         104
        .size:           8
        .value_kind:     by_value
      - .offset:         112
        .size:           8
        .value_kind:     by_value
      - .offset:         120
        .size:           8
        .value_kind:     by_value
      - .offset:         128
        .size:           4
        .value_kind:     by_value
    .group_segment_fixed_size: 1536
    .kernarg_segment_align: 8
    .kernarg_segment_size: 132
    .language:       OpenCL C
    .language_version:
      - 2
      - 0
    .max_flat_workgroup_size: 1024
    .name:           _ZL18rocblas_ger_kernelILi32ELi32ELi2ELb0E19rocblas_complex_numIdES1_PKS1_PS1_EviiT4_lT5_lllS6_lllT6_lmli
    .private_segment_fixed_size: 0
    .sgpr_count:     32
    .sgpr_spill_count: 0
    .symbol:         _ZL18rocblas_ger_kernelILi32ELi32ELi2ELb0E19rocblas_complex_numIdES1_PKS1_PS1_EviiT4_lT5_lllS6_lllT6_lmli.kd
    .uniform_work_group_size: 1
    .uses_dynamic_stack: false
    .vgpr_count:     18
    .vgpr_spill_count: 0
    .wavefront_size: 64
  - .args:
      - .offset:         0
        .size:           1
        .value_kind:     by_value
      - .offset:         4
        .size:           4
        .value_kind:     by_value
      - .offset:         8
        .size:           4
        .value_kind:     by_value
      - .offset:         16
        .size:           8
        .value_kind:     by_value
      - .offset:         24
        .size:           8
        .value_kind:     by_value
      - .actual_access:  read_only
        .address_space:  global
        .offset:         32
        .size:           8
        .value_kind:     global_buffer
      - .offset:         40
        .size:           8
        .value_kind:     by_value
      - .offset:         48
        .size:           8
        .value_kind:     by_value
      - .offset:         56
        .size:           8
        .value_kind:     by_value
      - .actual_access:  read_only
        .address_space:  global
        .offset:         64
        .size:           8
        .value_kind:     global_buffer
      - .offset:         72
        .size:           8
        .value_kind:     by_value
      - .offset:         80
        .size:           8
        .value_kind:     by_value
      - .offset:         88
        .size:           8
        .value_kind:     by_value
      - .address_space:  global
        .offset:         96
        .size:           8
        .value_kind:     global_buffer
      - .offset:         104
        .size:           8
        .value_kind:     by_value
      - .offset:         112
        .size:           8
        .value_kind:     by_value
      - .offset:         120
        .size:           8
        .value_kind:     by_value
      - .offset:         128
        .size:           4
        .value_kind:     by_value
    .group_segment_fixed_size: 0
    .kernarg_segment_align: 8
    .kernarg_segment_size: 132
    .language:       OpenCL C
    .language_version:
      - 2
      - 0
    .max_flat_workgroup_size: 1024
    .name:           _ZL34rocblas_ger_double_buffered_kernelILb1ELi64ELi16ELi2E19rocblas_complex_numIfE24rocblas_internal_val_ptrIS1_EPKS1_PS1_EvbiiT4_lT5_lllS8_lllT6_lmli
    .private_segment_fixed_size: 0
    .sgpr_count:     36
    .sgpr_spill_count: 0
    .symbol:         _ZL34rocblas_ger_double_buffered_kernelILb1ELi64ELi16ELi2E19rocblas_complex_numIfE24rocblas_internal_val_ptrIS1_EPKS1_PS1_EvbiiT4_lT5_lllS8_lllT6_lmli.kd
    .uniform_work_group_size: 1
    .uses_dynamic_stack: false
    .vgpr_count:     21
    .vgpr_spill_count: 0
    .wavefront_size: 64
  - .args:
      - .offset:         0
        .size:           4
        .value_kind:     by_value
      - .offset:         4
        .size:           4
        .value_kind:     by_value
      - .address_space:  global
        .offset:         8
        .size:           8
        .value_kind:     global_buffer
      - .offset:         16
        .size:           8
        .value_kind:     by_value
      - .actual_access:  read_only
        .address_space:  global
        .offset:         24
        .size:           8
        .value_kind:     global_buffer
      - .offset:         32
        .size:           8
        .value_kind:     by_value
      - .offset:         40
        .size:           8
        .value_kind:     by_value
      - .offset:         48
        .size:           8
        .value_kind:     by_value
      - .actual_access:  read_only
        .address_space:  global
        .offset:         56
        .size:           8
        .value_kind:     global_buffer
      - .offset:         64
        .size:           8
        .value_kind:     by_value
      - .offset:         72
        .size:           8
        .value_kind:     by_value
      - .offset:         80
        .size:           8
        .value_kind:     by_value
      - .address_space:  global
        .offset:         88
        .size:           8
        .value_kind:     global_buffer
      - .offset:         96
        .size:           8
        .value_kind:     by_value
      - .offset:         104
        .size:           8
        .value_kind:     by_value
      - .offset:         112
        .size:           8
        .value_kind:     by_value
      - .offset:         120
        .size:           4
        .value_kind:     by_value
    .group_segment_fixed_size: 768
    .kernarg_segment_align: 8
    .kernarg_segment_size: 124
    .language:       OpenCL C
    .language_version:
      - 2
      - 0
    .max_flat_workgroup_size: 1024
    .name:           _ZL18rocblas_ger_kernelILi32ELi32ELi2ELb1E19rocblas_complex_numIfEPKS1_S3_PS1_EviiT4_lT5_lllS6_lllT6_lmli
    .private_segment_fixed_size: 0
    .sgpr_count:     30
    .sgpr_spill_count: 0
    .symbol:         _ZL18rocblas_ger_kernelILi32ELi32ELi2ELb1E19rocblas_complex_numIfEPKS1_S3_PS1_EviiT4_lT5_lllS6_lllT6_lmli.kd
    .uniform_work_group_size: 1
    .uses_dynamic_stack: false
    .vgpr_count:     13
    .vgpr_spill_count: 0
    .wavefront_size: 64
  - .args:
      - .offset:         0
        .size:           4
        .value_kind:     by_value
      - .offset:         4
        .size:           4
        .value_kind:     by_value
      - .offset:         8
        .size:           8
        .value_kind:     by_value
      - .offset:         16
        .size:           8
        .value_kind:     by_value
      - .actual_access:  read_only
        .address_space:  global
        .offset:         24
        .size:           8
        .value_kind:     global_buffer
      - .offset:         32
        .size:           8
        .value_kind:     by_value
      - .offset:         40
        .size:           8
        .value_kind:     by_value
      - .offset:         48
        .size:           8
        .value_kind:     by_value
      - .actual_access:  read_only
        .address_space:  global
        .offset:         56
        .size:           8
        .value_kind:     global_buffer
      - .offset:         64
        .size:           8
        .value_kind:     by_value
      - .offset:         72
        .size:           8
        .value_kind:     by_value
      - .offset:         80
        .size:           8
        .value_kind:     by_value
      - .address_space:  global
        .offset:         88
        .size:           8
        .value_kind:     global_buffer
      - .offset:         96
        .size:           8
        .value_kind:     by_value
      - .offset:         104
        .size:           8
        .value_kind:     by_value
      - .offset:         112
        .size:           8
        .value_kind:     by_value
      - .offset:         120
        .size:           4
        .value_kind:     by_value
    .group_segment_fixed_size: 768
    .kernarg_segment_align: 8
    .kernarg_segment_size: 124
    .language:       OpenCL C
    .language_version:
      - 2
      - 0
    .max_flat_workgroup_size: 1024
    .name:           _ZL18rocblas_ger_kernelILi32ELi32ELi2ELb1E19rocblas_complex_numIfES1_PKS1_PS1_EviiT4_lT5_lllS6_lllT6_lmli
    .private_segment_fixed_size: 0
    .sgpr_count:     30
    .sgpr_spill_count: 0
    .symbol:         _ZL18rocblas_ger_kernelILi32ELi32ELi2ELb1E19rocblas_complex_numIfES1_PKS1_PS1_EviiT4_lT5_lllS6_lllT6_lmli.kd
    .uniform_work_group_size: 1
    .uses_dynamic_stack: false
    .vgpr_count:     13
    .vgpr_spill_count: 0
    .wavefront_size: 64
  - .args:
      - .offset:         0
        .size:           1
        .value_kind:     by_value
      - .offset:         4
        .size:           4
        .value_kind:     by_value
      - .offset:         8
        .size:           4
        .value_kind:     by_value
      - .offset:         16
        .size:           16
        .value_kind:     by_value
      - .offset:         32
        .size:           8
        .value_kind:     by_value
      - .actual_access:  read_only
        .address_space:  global
        .offset:         40
        .size:           8
        .value_kind:     global_buffer
      - .offset:         48
        .size:           8
        .value_kind:     by_value
      - .offset:         56
        .size:           8
        .value_kind:     by_value
      - .offset:         64
        .size:           8
        .value_kind:     by_value
      - .actual_access:  read_only
        .address_space:  global
        .offset:         72
        .size:           8
        .value_kind:     global_buffer
      - .offset:         80
        .size:           8
        .value_kind:     by_value
      - .offset:         88
        .size:           8
        .value_kind:     by_value
      - .offset:         96
        .size:           8
        .value_kind:     by_value
      - .address_space:  global
        .offset:         104
        .size:           8
        .value_kind:     global_buffer
      - .offset:         112
        .size:           8
        .value_kind:     by_value
      - .offset:         120
        .size:           8
        .value_kind:     by_value
      - .offset:         128
        .size:           8
        .value_kind:     by_value
      - .offset:         136
        .size:           4
        .value_kind:     by_value
    .group_segment_fixed_size: 0
    .kernarg_segment_align: 8
    .kernarg_segment_size: 140
    .language:       OpenCL C
    .language_version:
      - 2
      - 0
    .max_flat_workgroup_size: 1024
    .name:           _ZL34rocblas_ger_double_buffered_kernelILb1ELi64ELi16ELi2E19rocblas_complex_numIdE24rocblas_internal_val_ptrIS1_EPKS1_PS1_EvbiiT4_lT5_lllS8_lllT6_lmli
    .private_segment_fixed_size: 0
    .sgpr_count:     40
    .sgpr_spill_count: 0
    .symbol:         _ZL34rocblas_ger_double_buffered_kernelILb1ELi64ELi16ELi2E19rocblas_complex_numIdE24rocblas_internal_val_ptrIS1_EPKS1_PS1_EvbiiT4_lT5_lllS8_lllT6_lmli.kd
    .uniform_work_group_size: 1
    .uses_dynamic_stack: false
    .vgpr_count:     28
    .vgpr_spill_count: 0
    .wavefront_size: 64
  - .args:
      - .offset:         0
        .size:           4
        .value_kind:     by_value
      - .offset:         4
        .size:           4
        .value_kind:     by_value
      - .address_space:  global
        .offset:         8
        .size:           8
        .value_kind:     global_buffer
      - .offset:         16
        .size:           8
        .value_kind:     by_value
      - .actual_access:  read_only
        .address_space:  global
        .offset:         24
        .size:           8
        .value_kind:     global_buffer
      - .offset:         32
        .size:           8
        .value_kind:     by_value
      - .offset:         40
        .size:           8
        .value_kind:     by_value
      - .offset:         48
        .size:           8
        .value_kind:     by_value
      - .actual_access:  read_only
        .address_space:  global
        .offset:         56
        .size:           8
        .value_kind:     global_buffer
      - .offset:         64
        .size:           8
        .value_kind:     by_value
      - .offset:         72
        .size:           8
        .value_kind:     by_value
      - .offset:         80
        .size:           8
        .value_kind:     by_value
      - .address_space:  global
        .offset:         88
        .size:           8
        .value_kind:     global_buffer
      - .offset:         96
        .size:           8
        .value_kind:     by_value
      - .offset:         104
        .size:           8
        .value_kind:     by_value
      - .offset:         112
        .size:           8
        .value_kind:     by_value
      - .offset:         120
        .size:           4
        .value_kind:     by_value
    .group_segment_fixed_size: 1536
    .kernarg_segment_align: 8
    .kernarg_segment_size: 124
    .language:       OpenCL C
    .language_version:
      - 2
      - 0
    .max_flat_workgroup_size: 1024
    .name:           _ZL18rocblas_ger_kernelILi32ELi32ELi2ELb1E19rocblas_complex_numIdEPKS1_S3_PS1_EviiT4_lT5_lllS6_lllT6_lmli
    .private_segment_fixed_size: 0
    .sgpr_count:     32
    .sgpr_spill_count: 0
    .symbol:         _ZL18rocblas_ger_kernelILi32ELi32ELi2ELb1E19rocblas_complex_numIdEPKS1_S3_PS1_EviiT4_lT5_lllS6_lllT6_lmli.kd
    .uniform_work_group_size: 1
    .uses_dynamic_stack: false
    .vgpr_count:     18
    .vgpr_spill_count: 0
    .wavefront_size: 64
  - .args:
      - .offset:         0
        .size:           4
        .value_kind:     by_value
      - .offset:         4
        .size:           4
        .value_kind:     by_value
      - .offset:         8
        .size:           16
        .value_kind:     by_value
      - .offset:         24
        .size:           8
        .value_kind:     by_value
      - .actual_access:  read_only
        .address_space:  global
        .offset:         32
        .size:           8
        .value_kind:     global_buffer
      - .offset:         40
        .size:           8
        .value_kind:     by_value
      - .offset:         48
        .size:           8
        .value_kind:     by_value
      - .offset:         56
        .size:           8
        .value_kind:     by_value
      - .actual_access:  read_only
        .address_space:  global
        .offset:         64
        .size:           8
        .value_kind:     global_buffer
      - .offset:         72
        .size:           8
        .value_kind:     by_value
      - .offset:         80
        .size:           8
        .value_kind:     by_value
      - .offset:         88
        .size:           8
        .value_kind:     by_value
      - .address_space:  global
        .offset:         96
        .size:           8
        .value_kind:     global_buffer
      - .offset:         104
        .size:           8
        .value_kind:     by_value
      - .offset:         112
        .size:           8
        .value_kind:     by_value
      - .offset:         120
        .size:           8
        .value_kind:     by_value
      - .offset:         128
        .size:           4
        .value_kind:     by_value
    .group_segment_fixed_size: 1536
    .kernarg_segment_align: 8
    .kernarg_segment_size: 132
    .language:       OpenCL C
    .language_version:
      - 2
      - 0
    .max_flat_workgroup_size: 1024
    .name:           _ZL18rocblas_ger_kernelILi32ELi32ELi2ELb1E19rocblas_complex_numIdES1_PKS1_PS1_EviiT4_lT5_lllS6_lllT6_lmli
    .private_segment_fixed_size: 0
    .sgpr_count:     32
    .sgpr_spill_count: 0
    .symbol:         _ZL18rocblas_ger_kernelILi32ELi32ELi2ELb1E19rocblas_complex_numIdES1_PKS1_PS1_EviiT4_lT5_lllS6_lllT6_lmli.kd
    .uniform_work_group_size: 1
    .uses_dynamic_stack: false
    .vgpr_count:     18
    .vgpr_spill_count: 0
    .wavefront_size: 64
  - .args:
      - .offset:         0
        .size:           1
        .value_kind:     by_value
      - .offset:         4
        .size:           4
        .value_kind:     by_value
      - .offset:         8
        .size:           4
        .value_kind:     by_value
      - .offset:         16
        .size:           8
        .value_kind:     by_value
      - .offset:         24
        .size:           8
        .value_kind:     by_value
      - .actual_access:  read_only
        .address_space:  global
        .offset:         32
        .size:           8
        .value_kind:     global_buffer
      - .offset:         40
        .size:           8
        .value_kind:     by_value
      - .offset:         48
        .size:           8
        .value_kind:     by_value
      - .offset:         56
        .size:           8
        .value_kind:     by_value
      - .actual_access:  read_only
        .address_space:  global
        .offset:         64
        .size:           8
        .value_kind:     global_buffer
      - .offset:         72
        .size:           8
        .value_kind:     by_value
      - .offset:         80
        .size:           8
        .value_kind:     by_value
      - .offset:         88
        .size:           8
        .value_kind:     by_value
      - .actual_access:  read_only
        .address_space:  global
        .offset:         96
        .size:           8
        .value_kind:     global_buffer
      - .offset:         104
        .size:           8
        .value_kind:     by_value
      - .offset:         112
        .size:           8
        .value_kind:     by_value
      - .offset:         120
        .size:           8
        .value_kind:     by_value
      - .offset:         128
        .size:           4
        .value_kind:     by_value
    .group_segment_fixed_size: 0
    .kernarg_segment_align: 8
    .kernarg_segment_size: 132
    .language:       OpenCL C
    .language_version:
      - 2
      - 0
    .max_flat_workgroup_size: 1024
    .name:           _ZL34rocblas_ger_double_buffered_kernelILb0ELi128ELi8ELi8Ef24rocblas_internal_val_ptrIfEPKPKfPKPfEvbiiT4_lT5_lllSA_lllT6_lmli
    .private_segment_fixed_size: 0
    .sgpr_count:     32
    .sgpr_spill_count: 0
    .symbol:         _ZL34rocblas_ger_double_buffered_kernelILb0ELi128ELi8ELi8Ef24rocblas_internal_val_ptrIfEPKPKfPKPfEvbiiT4_lT5_lllSA_lllT6_lmli.kd
    .uniform_work_group_size: 1
    .uses_dynamic_stack: false
    .vgpr_count:     42
    .vgpr_spill_count: 0
    .wavefront_size: 64
  - .args:
      - .offset:         0
        .size:           4
        .value_kind:     by_value
      - .offset:         4
        .size:           4
        .value_kind:     by_value
      - .address_space:  global
        .offset:         8
        .size:           8
        .value_kind:     global_buffer
      - .offset:         16
        .size:           8
        .value_kind:     by_value
      - .address_space:  global
        .offset:         24
        .size:           8
        .value_kind:     global_buffer
      - .offset:         32
        .size:           8
        .value_kind:     by_value
      - .offset:         40
        .size:           8
        .value_kind:     by_value
      - .offset:         48
        .size:           8
        .value_kind:     by_value
      - .address_space:  global
        .offset:         56
        .size:           8
        .value_kind:     global_buffer
      - .offset:         64
        .size:           8
        .value_kind:     by_value
      - .offset:         72
        .size:           8
        .value_kind:     by_value
      - .offset:         80
        .size:           8
        .value_kind:     by_value
      - .address_space:  global
        .offset:         88
        .size:           8
        .value_kind:     global_buffer
      - .offset:         96
        .size:           8
        .value_kind:     by_value
      - .offset:         104
        .size:           8
        .value_kind:     by_value
      - .offset:         112
        .size:           8
        .value_kind:     by_value
    .group_segment_fixed_size: 0
    .kernarg_segment_align: 8
    .kernarg_segment_size: 120
    .language:       OpenCL C
    .language_version:
      - 2
      - 0
    .max_flat_workgroup_size: 256
    .name:           _ZL26rocblas_sger_gfx942_kernelILi256EfPKfPKS1_PKPfEviiT1_lT2_lllS8_lllT3_lll
    .private_segment_fixed_size: 0
    .sgpr_count:     4
    .sgpr_spill_count: 0
    .symbol:         _ZL26rocblas_sger_gfx942_kernelILi256EfPKfPKS1_PKPfEviiT1_lT2_lllS8_lllT3_lll.kd
    .uniform_work_group_size: 1
    .uses_dynamic_stack: false
    .vgpr_count:     0
    .vgpr_spill_count: 0
    .wavefront_size: 64
  - .args:
      - .offset:         0
        .size:           4
        .value_kind:     by_value
      - .offset:         4
        .size:           4
        .value_kind:     by_value
      - .offset:         8
        .size:           4
        .value_kind:     by_value
      - .offset:         16
        .size:           8
        .value_kind:     by_value
      - .address_space:  global
        .offset:         24
        .size:           8
        .value_kind:     global_buffer
      - .offset:         32
        .size:           8
        .value_kind:     by_value
      - .offset:         40
        .size:           8
        .value_kind:     by_value
      - .offset:         48
        .size:           8
        .value_kind:     by_value
      - .address_space:  global
        .offset:         56
        .size:           8
        .value_kind:     global_buffer
      - .offset:         64
        .size:           8
        .value_kind:     by_value
      - .offset:         72
        .size:           8
        .value_kind:     by_value
      - .offset:         80
        .size:           8
        .value_kind:     by_value
      - .address_space:  global
        .offset:         88
        .size:           8
        .value_kind:     global_buffer
      - .offset:         96
        .size:           8
        .value_kind:     by_value
      - .offset:         104
        .size:           8
        .value_kind:     by_value
      - .offset:         112
        .size:           8
        .value_kind:     by_value
    .group_segment_fixed_size: 0
    .kernarg_segment_align: 8
    .kernarg_segment_size: 120
    .language:       OpenCL C
    .language_version:
      - 2
      - 0
    .max_flat_workgroup_size: 256
    .name:           _ZL26rocblas_sger_gfx942_kernelILi256EffPKPKfPKPfEviiT1_lT2_lllS8_lllT3_lll
    .private_segment_fixed_size: 0
    .sgpr_count:     4
    .sgpr_spill_count: 0
    .symbol:         _ZL26rocblas_sger_gfx942_kernelILi256EffPKPKfPKPfEviiT1_lT2_lllS8_lllT3_lll.kd
    .uniform_work_group_size: 1
    .uses_dynamic_stack: false
    .vgpr_count:     0
    .vgpr_spill_count: 0
    .wavefront_size: 64
  - .args:
      - .offset:         0
        .size:           4
        .value_kind:     by_value
      - .offset:         4
        .size:           4
        .value_kind:     by_value
      - .address_space:  global
        .offset:         8
        .size:           8
        .value_kind:     global_buffer
      - .offset:         16
        .size:           8
        .value_kind:     by_value
      - .actual_access:  read_only
        .address_space:  global
        .offset:         24
        .size:           8
        .value_kind:     global_buffer
      - .offset:         32
        .size:           8
        .value_kind:     by_value
      - .offset:         40
        .size:           8
        .value_kind:     by_value
      - .offset:         48
        .size:           8
        .value_kind:     by_value
      - .actual_access:  read_only
        .address_space:  global
        .offset:         56
        .size:           8
        .value_kind:     global_buffer
      - .offset:         64
        .size:           8
        .value_kind:     by_value
      - .offset:         72
        .size:           8
        .value_kind:     by_value
      - .offset:         80
        .size:           8
        .value_kind:     by_value
      - .actual_access:  read_only
        .address_space:  global
        .offset:         88
        .size:           8
        .value_kind:     global_buffer
      - .offset:         96
        .size:           8
        .value_kind:     by_value
      - .offset:         104
        .size:           8
        .value_kind:     by_value
      - .offset:         112
        .size:           8
        .value_kind:     by_value
      - .offset:         120
        .size:           4
        .value_kind:     by_value
    .group_segment_fixed_size: 0
    .kernarg_segment_align: 8
    .kernarg_segment_size: 124
    .language:       OpenCL C
    .language_version:
      - 2
      - 0
    .max_flat_workgroup_size: 1024
    .name:           _ZL19rocblas_sger_kernelILi1024EfPKfPKS1_PKPfEviiT1_lT2_lllS8_lllT3_lmli
    .private_segment_fixed_size: 0
    .sgpr_count:     32
    .sgpr_spill_count: 0
    .symbol:         _ZL19rocblas_sger_kernelILi1024EfPKfPKS1_PKPfEviiT1_lT2_lllS8_lllT3_lmli.kd
    .uniform_work_group_size: 1
    .uses_dynamic_stack: false
    .vgpr_count:     9
    .vgpr_spill_count: 0
    .wavefront_size: 64
  - .args:
      - .offset:         0
        .size:           4
        .value_kind:     by_value
      - .offset:         4
        .size:           4
        .value_kind:     by_value
      - .offset:         8
        .size:           4
        .value_kind:     by_value
      - .offset:         16
        .size:           8
        .value_kind:     by_value
      - .actual_access:  read_only
        .address_space:  global
        .offset:         24
        .size:           8
        .value_kind:     global_buffer
      - .offset:         32
        .size:           8
        .value_kind:     by_value
      - .offset:         40
        .size:           8
        .value_kind:     by_value
      - .offset:         48
        .size:           8
        .value_kind:     by_value
      - .actual_access:  read_only
        .address_space:  global
        .offset:         56
        .size:           8
        .value_kind:     global_buffer
      - .offset:         64
        .size:           8
        .value_kind:     by_value
      - .offset:         72
        .size:           8
        .value_kind:     by_value
      - .offset:         80
        .size:           8
        .value_kind:     by_value
      - .actual_access:  read_only
        .address_space:  global
        .offset:         88
        .size:           8
        .value_kind:     global_buffer
      - .offset:         96
        .size:           8
        .value_kind:     by_value
      - .offset:         104
        .size:           8
        .value_kind:     by_value
      - .offset:         112
        .size:           8
        .value_kind:     by_value
      - .offset:         120
        .size:           4
        .value_kind:     by_value
    .group_segment_fixed_size: 0
    .kernarg_segment_align: 8
    .kernarg_segment_size: 124
    .language:       OpenCL C
    .language_version:
      - 2
      - 0
    .max_flat_workgroup_size: 1024
    .name:           _ZL19rocblas_sger_kernelILi1024EffPKPKfPKPfEviiT1_lT2_lllS8_lllT3_lmli
    .private_segment_fixed_size: 0
    .sgpr_count:     32
    .sgpr_spill_count: 0
    .symbol:         _ZL19rocblas_sger_kernelILi1024EffPKPKfPKPfEviiT1_lT2_lllS8_lllT3_lmli.kd
    .uniform_work_group_size: 1
    .uses_dynamic_stack: false
    .vgpr_count:     9
    .vgpr_spill_count: 0
    .wavefront_size: 64
  - .args:
      - .offset:         0
        .size:           4
        .value_kind:     by_value
      - .offset:         4
        .size:           4
        .value_kind:     by_value
      - .address_space:  global
        .offset:         8
        .size:           8
        .value_kind:     global_buffer
      - .offset:         16
        .size:           8
        .value_kind:     by_value
      - .actual_access:  read_only
        .address_space:  global
        .offset:         24
        .size:           8
        .value_kind:     global_buffer
      - .offset:         32
        .size:           8
        .value_kind:     by_value
      - .offset:         40
        .size:           8
        .value_kind:     by_value
      - .offset:         48
        .size:           8
        .value_kind:     by_value
      - .actual_access:  read_only
        .address_space:  global
        .offset:         56
        .size:           8
        .value_kind:     global_buffer
      - .offset:         64
        .size:           8
        .value_kind:     by_value
      - .offset:         72
        .size:           8
        .value_kind:     by_value
      - .offset:         80
        .size:           8
        .value_kind:     by_value
      - .actual_access:  read_only
        .address_space:  global
        .offset:         88
        .size:           8
        .value_kind:     global_buffer
      - .offset:         96
        .size:           8
        .value_kind:     by_value
      - .offset:         104
        .size:           8
        .value_kind:     by_value
      - .offset:         112
        .size:           8
        .value_kind:     by_value
      - .offset:         120
        .size:           4
        .value_kind:     by_value
    .group_segment_fixed_size: 384
    .kernarg_segment_align: 8
    .kernarg_segment_size: 124
    .language:       OpenCL C
    .language_version:
      - 2
      - 0
    .max_flat_workgroup_size: 1024
    .name:           _ZL18rocblas_ger_kernelILi32ELi32ELi2ELb0EfPKfPKS1_PKPfEviiT4_lT5_lllS8_lllT6_lmli
    .private_segment_fixed_size: 0
    .sgpr_count:     26
    .sgpr_spill_count: 0
    .symbol:         _ZL18rocblas_ger_kernelILi32ELi32ELi2ELb0EfPKfPKS1_PKPfEviiT4_lT5_lllS8_lllT6_lmli.kd
    .uniform_work_group_size: 1
    .uses_dynamic_stack: false
    .vgpr_count:     9
    .vgpr_spill_count: 0
    .wavefront_size: 64
  - .args:
      - .offset:         0
        .size:           4
        .value_kind:     by_value
      - .offset:         4
        .size:           4
        .value_kind:     by_value
      - .offset:         8
        .size:           4
        .value_kind:     by_value
      - .offset:         16
        .size:           8
        .value_kind:     by_value
      - .actual_access:  read_only
        .address_space:  global
        .offset:         24
        .size:           8
        .value_kind:     global_buffer
      - .offset:         32
        .size:           8
        .value_kind:     by_value
      - .offset:         40
        .size:           8
        .value_kind:     by_value
      - .offset:         48
        .size:           8
        .value_kind:     by_value
      - .actual_access:  read_only
        .address_space:  global
        .offset:         56
        .size:           8
        .value_kind:     global_buffer
      - .offset:         64
        .size:           8
        .value_kind:     by_value
      - .offset:         72
        .size:           8
        .value_kind:     by_value
      - .offset:         80
        .size:           8
        .value_kind:     by_value
      - .actual_access:  read_only
        .address_space:  global
        .offset:         88
        .size:           8
        .value_kind:     global_buffer
      - .offset:         96
        .size:           8
        .value_kind:     by_value
      - .offset:         104
        .size:           8
        .value_kind:     by_value
      - .offset:         112
        .size:           8
        .value_kind:     by_value
      - .offset:         120
        .size:           4
        .value_kind:     by_value
    .group_segment_fixed_size: 384
    .kernarg_segment_align: 8
    .kernarg_segment_size: 124
    .language:       OpenCL C
    .language_version:
      - 2
      - 0
    .max_flat_workgroup_size: 1024
    .name:           _ZL18rocblas_ger_kernelILi32ELi32ELi2ELb0EffPKPKfPKPfEviiT4_lT5_lllS8_lllT6_lmli
    .private_segment_fixed_size: 0
    .sgpr_count:     26
    .sgpr_spill_count: 0
    .symbol:         _ZL18rocblas_ger_kernelILi32ELi32ELi2ELb0EffPKPKfPKPfEviiT4_lT5_lllS8_lllT6_lmli.kd
    .uniform_work_group_size: 1
    .uses_dynamic_stack: false
    .vgpr_count:     9
    .vgpr_spill_count: 0
    .wavefront_size: 64
  - .args:
      - .offset:         0
        .size:           1
        .value_kind:     by_value
      - .offset:         4
        .size:           4
        .value_kind:     by_value
      - .offset:         8
        .size:           4
        .value_kind:     by_value
      - .offset:         16
        .size:           8
        .value_kind:     by_value
      - .offset:         24
        .size:           8
        .value_kind:     by_value
      - .actual_access:  read_only
        .address_space:  global
        .offset:         32
        .size:           8
        .value_kind:     global_buffer
      - .offset:         40
        .size:           8
        .value_kind:     by_value
      - .offset:         48
        .size:           8
        .value_kind:     by_value
      - .offset:         56
        .size:           8
        .value_kind:     by_value
      - .actual_access:  read_only
        .address_space:  global
        .offset:         64
        .size:           8
        .value_kind:     global_buffer
      - .offset:         72
        .size:           8
        .value_kind:     by_value
      - .offset:         80
        .size:           8
        .value_kind:     by_value
      - .offset:         88
        .size:           8
        .value_kind:     by_value
      - .actual_access:  read_only
        .address_space:  global
        .offset:         96
        .size:           8
        .value_kind:     global_buffer
      - .offset:         104
        .size:           8
        .value_kind:     by_value
      - .offset:         112
        .size:           8
        .value_kind:     by_value
      - .offset:         120
        .size:           8
        .value_kind:     by_value
      - .offset:         128
        .size:           4
        .value_kind:     by_value
    .group_segment_fixed_size: 0
    .kernarg_segment_align: 8
    .kernarg_segment_size: 132
    .language:       OpenCL C
    .language_version:
      - 2
      - 0
    .max_flat_workgroup_size: 1024
    .name:           _ZL34rocblas_ger_double_buffered_kernelILb0ELi64ELi16ELi2Ed24rocblas_internal_val_ptrIdEPKPKdPKPdEvbiiT4_lT5_lllSA_lllT6_lmli
    .private_segment_fixed_size: 0
    .sgpr_count:     30
    .sgpr_spill_count: 0
    .symbol:         _ZL34rocblas_ger_double_buffered_kernelILb0ELi64ELi16ELi2Ed24rocblas_internal_val_ptrIdEPKPKdPKPdEvbiiT4_lT5_lllSA_lllT6_lmli.kd
    .uniform_work_group_size: 1
    .uses_dynamic_stack: false
    .vgpr_count:     20
    .vgpr_spill_count: 0
    .wavefront_size: 64
  - .args:
      - .offset:         0
        .size:           4
        .value_kind:     by_value
      - .offset:         4
        .size:           4
        .value_kind:     by_value
      - .address_space:  global
        .offset:         8
        .size:           8
        .value_kind:     global_buffer
      - .offset:         16
        .size:           8
        .value_kind:     by_value
      - .address_space:  global
        .offset:         24
        .size:           8
        .value_kind:     global_buffer
      - .offset:         32
        .size:           8
        .value_kind:     by_value
      - .offset:         40
        .size:           8
        .value_kind:     by_value
      - .offset:         48
        .size:           8
        .value_kind:     by_value
      - .address_space:  global
        .offset:         56
        .size:           8
        .value_kind:     global_buffer
      - .offset:         64
        .size:           8
        .value_kind:     by_value
      - .offset:         72
        .size:           8
        .value_kind:     by_value
      - .offset:         80
        .size:           8
        .value_kind:     by_value
      - .address_space:  global
        .offset:         88
        .size:           8
        .value_kind:     global_buffer
      - .offset:         96
        .size:           8
        .value_kind:     by_value
      - .offset:         104
        .size:           8
        .value_kind:     by_value
      - .offset:         112
        .size:           8
        .value_kind:     by_value
    .group_segment_fixed_size: 0
    .kernarg_segment_align: 8
    .kernarg_segment_size: 120
    .language:       OpenCL C
    .language_version:
      - 2
      - 0
    .max_flat_workgroup_size: 256
    .name:           _ZL26rocblas_sger_gfx942_kernelILi256EdPKdPKS1_PKPdEviiT1_lT2_lllS8_lllT3_lll
    .private_segment_fixed_size: 0
    .sgpr_count:     4
    .sgpr_spill_count: 0
    .symbol:         _ZL26rocblas_sger_gfx942_kernelILi256EdPKdPKS1_PKPdEviiT1_lT2_lllS8_lllT3_lll.kd
    .uniform_work_group_size: 1
    .uses_dynamic_stack: false
    .vgpr_count:     0
    .vgpr_spill_count: 0
    .wavefront_size: 64
  - .args:
      - .offset:         0
        .size:           4
        .value_kind:     by_value
      - .offset:         4
        .size:           4
        .value_kind:     by_value
      - .offset:         8
        .size:           8
        .value_kind:     by_value
      - .offset:         16
        .size:           8
        .value_kind:     by_value
      - .address_space:  global
        .offset:         24
        .size:           8
        .value_kind:     global_buffer
      - .offset:         32
        .size:           8
        .value_kind:     by_value
      - .offset:         40
        .size:           8
        .value_kind:     by_value
      - .offset:         48
        .size:           8
        .value_kind:     by_value
      - .address_space:  global
        .offset:         56
        .size:           8
        .value_kind:     global_buffer
      - .offset:         64
        .size:           8
        .value_kind:     by_value
      - .offset:         72
        .size:           8
        .value_kind:     by_value
      - .offset:         80
        .size:           8
        .value_kind:     by_value
      - .address_space:  global
        .offset:         88
        .size:           8
        .value_kind:     global_buffer
      - .offset:         96
        .size:           8
        .value_kind:     by_value
      - .offset:         104
        .size:           8
        .value_kind:     by_value
      - .offset:         112
        .size:           8
        .value_kind:     by_value
    .group_segment_fixed_size: 0
    .kernarg_segment_align: 8
    .kernarg_segment_size: 120
    .language:       OpenCL C
    .language_version:
      - 2
      - 0
    .max_flat_workgroup_size: 256
    .name:           _ZL26rocblas_sger_gfx942_kernelILi256EddPKPKdPKPdEviiT1_lT2_lllS8_lllT3_lll
    .private_segment_fixed_size: 0
    .sgpr_count:     4
    .sgpr_spill_count: 0
    .symbol:         _ZL26rocblas_sger_gfx942_kernelILi256EddPKPKdPKPdEviiT1_lT2_lllS8_lllT3_lll.kd
    .uniform_work_group_size: 1
    .uses_dynamic_stack: false
    .vgpr_count:     0
    .vgpr_spill_count: 0
    .wavefront_size: 64
  - .args:
      - .offset:         0
        .size:           4
        .value_kind:     by_value
      - .offset:         4
        .size:           4
        .value_kind:     by_value
      - .address_space:  global
        .offset:         8
        .size:           8
        .value_kind:     global_buffer
      - .offset:         16
        .size:           8
        .value_kind:     by_value
      - .actual_access:  read_only
        .address_space:  global
        .offset:         24
        .size:           8
        .value_kind:     global_buffer
      - .offset:         32
        .size:           8
        .value_kind:     by_value
      - .offset:         40
        .size:           8
        .value_kind:     by_value
      - .offset:         48
        .size:           8
        .value_kind:     by_value
      - .actual_access:  read_only
        .address_space:  global
        .offset:         56
        .size:           8
        .value_kind:     global_buffer
      - .offset:         64
        .size:           8
        .value_kind:     by_value
      - .offset:         72
        .size:           8
        .value_kind:     by_value
      - .offset:         80
        .size:           8
        .value_kind:     by_value
      - .actual_access:  read_only
        .address_space:  global
        .offset:         88
        .size:           8
        .value_kind:     global_buffer
      - .offset:         96
        .size:           8
        .value_kind:     by_value
      - .offset:         104
        .size:           8
        .value_kind:     by_value
      - .offset:         112
        .size:           8
        .value_kind:     by_value
      - .offset:         120
        .size:           4
        .value_kind:     by_value
    .group_segment_fixed_size: 0
    .kernarg_segment_align: 8
    .kernarg_segment_size: 124
    .language:       OpenCL C
    .language_version:
      - 2
      - 0
    .max_flat_workgroup_size: 1024
    .name:           _ZL19rocblas_sger_kernelILi1024EdPKdPKS1_PKPdEviiT1_lT2_lllS8_lllT3_lmli
    .private_segment_fixed_size: 0
    .sgpr_count:     32
    .sgpr_spill_count: 0
    .symbol:         _ZL19rocblas_sger_kernelILi1024EdPKdPKS1_PKPdEviiT1_lT2_lllS8_lllT3_lmli.kd
    .uniform_work_group_size: 1
    .uses_dynamic_stack: false
    .vgpr_count:     12
    .vgpr_spill_count: 0
    .wavefront_size: 64
  - .args:
      - .offset:         0
        .size:           4
        .value_kind:     by_value
      - .offset:         4
        .size:           4
        .value_kind:     by_value
      - .offset:         8
        .size:           8
        .value_kind:     by_value
      - .offset:         16
        .size:           8
        .value_kind:     by_value
      - .actual_access:  read_only
        .address_space:  global
        .offset:         24
        .size:           8
        .value_kind:     global_buffer
      - .offset:         32
        .size:           8
        .value_kind:     by_value
      - .offset:         40
        .size:           8
        .value_kind:     by_value
      - .offset:         48
        .size:           8
        .value_kind:     by_value
      - .actual_access:  read_only
        .address_space:  global
        .offset:         56
        .size:           8
        .value_kind:     global_buffer
      - .offset:         64
        .size:           8
        .value_kind:     by_value
      - .offset:         72
        .size:           8
        .value_kind:     by_value
      - .offset:         80
        .size:           8
        .value_kind:     by_value
      - .actual_access:  read_only
        .address_space:  global
        .offset:         88
        .size:           8
        .value_kind:     global_buffer
      - .offset:         96
        .size:           8
        .value_kind:     by_value
      - .offset:         104
        .size:           8
        .value_kind:     by_value
      - .offset:         112
        .size:           8
        .value_kind:     by_value
      - .offset:         120
        .size:           4
        .value_kind:     by_value
    .group_segment_fixed_size: 0
    .kernarg_segment_align: 8
    .kernarg_segment_size: 124
    .language:       OpenCL C
    .language_version:
      - 2
      - 0
    .max_flat_workgroup_size: 1024
    .name:           _ZL19rocblas_sger_kernelILi1024EddPKPKdPKPdEviiT1_lT2_lllS8_lllT3_lmli
    .private_segment_fixed_size: 0
    .sgpr_count:     32
    .sgpr_spill_count: 0
    .symbol:         _ZL19rocblas_sger_kernelILi1024EddPKPKdPKPdEviiT1_lT2_lllS8_lllT3_lmli.kd
    .uniform_work_group_size: 1
    .uses_dynamic_stack: false
    .vgpr_count:     12
    .vgpr_spill_count: 0
    .wavefront_size: 64
  - .args:
      - .offset:         0
        .size:           4
        .value_kind:     by_value
      - .offset:         4
        .size:           4
        .value_kind:     by_value
      - .address_space:  global
        .offset:         8
        .size:           8
        .value_kind:     global_buffer
      - .offset:         16
        .size:           8
        .value_kind:     by_value
      - .actual_access:  read_only
        .address_space:  global
        .offset:         24
        .size:           8
        .value_kind:     global_buffer
      - .offset:         32
        .size:           8
        .value_kind:     by_value
      - .offset:         40
        .size:           8
        .value_kind:     by_value
      - .offset:         48
        .size:           8
        .value_kind:     by_value
      - .actual_access:  read_only
        .address_space:  global
        .offset:         56
        .size:           8
        .value_kind:     global_buffer
      - .offset:         64
        .size:           8
        .value_kind:     by_value
      - .offset:         72
        .size:           8
        .value_kind:     by_value
      - .offset:         80
        .size:           8
        .value_kind:     by_value
      - .actual_access:  read_only
        .address_space:  global
        .offset:         88
        .size:           8
        .value_kind:     global_buffer
      - .offset:         96
        .size:           8
        .value_kind:     by_value
      - .offset:         104
        .size:           8
        .value_kind:     by_value
      - .offset:         112
        .size:           8
        .value_kind:     by_value
      - .offset:         120
        .size:           4
        .value_kind:     by_value
    .group_segment_fixed_size: 768
    .kernarg_segment_align: 8
    .kernarg_segment_size: 124
    .language:       OpenCL C
    .language_version:
      - 2
      - 0
    .max_flat_workgroup_size: 1024
    .name:           _ZL18rocblas_ger_kernelILi32ELi32ELi2ELb0EdPKdPKS1_PKPdEviiT4_lT5_lllS8_lllT6_lmli
    .private_segment_fixed_size: 0
    .sgpr_count:     28
    .sgpr_spill_count: 0
    .symbol:         _ZL18rocblas_ger_kernelILi32ELi32ELi2ELb0EdPKdPKS1_PKPdEviiT4_lT5_lllS8_lllT6_lmli.kd
    .uniform_work_group_size: 1
    .uses_dynamic_stack: false
    .vgpr_count:     12
    .vgpr_spill_count: 0
    .wavefront_size: 64
  - .args:
      - .offset:         0
        .size:           4
        .value_kind:     by_value
      - .offset:         4
        .size:           4
        .value_kind:     by_value
      - .offset:         8
        .size:           8
        .value_kind:     by_value
      - .offset:         16
        .size:           8
        .value_kind:     by_value
      - .actual_access:  read_only
        .address_space:  global
        .offset:         24
        .size:           8
        .value_kind:     global_buffer
      - .offset:         32
        .size:           8
        .value_kind:     by_value
      - .offset:         40
        .size:           8
        .value_kind:     by_value
      - .offset:         48
        .size:           8
        .value_kind:     by_value
      - .actual_access:  read_only
        .address_space:  global
        .offset:         56
        .size:           8
        .value_kind:     global_buffer
      - .offset:         64
        .size:           8
        .value_kind:     by_value
      - .offset:         72
        .size:           8
        .value_kind:     by_value
      - .offset:         80
        .size:           8
        .value_kind:     by_value
      - .actual_access:  read_only
        .address_space:  global
        .offset:         88
        .size:           8
        .value_kind:     global_buffer
      - .offset:         96
        .size:           8
        .value_kind:     by_value
      - .offset:         104
        .size:           8
        .value_kind:     by_value
      - .offset:         112
        .size:           8
        .value_kind:     by_value
      - .offset:         120
        .size:           4
        .value_kind:     by_value
    .group_segment_fixed_size: 768
    .kernarg_segment_align: 8
    .kernarg_segment_size: 124
    .language:       OpenCL C
    .language_version:
      - 2
      - 0
    .max_flat_workgroup_size: 1024
    .name:           _ZL18rocblas_ger_kernelILi32ELi32ELi2ELb0EddPKPKdPKPdEviiT4_lT5_lllS8_lllT6_lmli
    .private_segment_fixed_size: 0
    .sgpr_count:     28
    .sgpr_spill_count: 0
    .symbol:         _ZL18rocblas_ger_kernelILi32ELi32ELi2ELb0EddPKPKdPKPdEviiT4_lT5_lllS8_lllT6_lmli.kd
    .uniform_work_group_size: 1
    .uses_dynamic_stack: false
    .vgpr_count:     12
    .vgpr_spill_count: 0
    .wavefront_size: 64
  - .args:
      - .offset:         0
        .size:           1
        .value_kind:     by_value
      - .offset:         4
        .size:           4
        .value_kind:     by_value
      - .offset:         8
        .size:           4
        .value_kind:     by_value
      - .offset:         16
        .size:           8
        .value_kind:     by_value
      - .offset:         24
        .size:           8
        .value_kind:     by_value
      - .actual_access:  read_only
        .address_space:  global
        .offset:         32
        .size:           8
        .value_kind:     global_buffer
      - .offset:         40
        .size:           8
        .value_kind:     by_value
      - .offset:         48
        .size:           8
        .value_kind:     by_value
      - .offset:         56
        .size:           8
        .value_kind:     by_value
      - .actual_access:  read_only
        .address_space:  global
        .offset:         64
        .size:           8
        .value_kind:     global_buffer
      - .offset:         72
        .size:           8
        .value_kind:     by_value
      - .offset:         80
        .size:           8
        .value_kind:     by_value
      - .offset:         88
        .size:           8
        .value_kind:     by_value
      - .actual_access:  read_only
        .address_space:  global
        .offset:         96
        .size:           8
        .value_kind:     global_buffer
      - .offset:         104
        .size:           8
        .value_kind:     by_value
      - .offset:         112
        .size:           8
        .value_kind:     by_value
      - .offset:         120
        .size:           8
        .value_kind:     by_value
      - .offset:         128
        .size:           4
        .value_kind:     by_value
    .group_segment_fixed_size: 0
    .kernarg_segment_align: 8
    .kernarg_segment_size: 132
    .language:       OpenCL C
    .language_version:
      - 2
      - 0
    .max_flat_workgroup_size: 1024
    .name:           _ZL34rocblas_ger_double_buffered_kernelILb0ELi64ELi16ELi2E19rocblas_complex_numIfE24rocblas_internal_val_ptrIS1_EPKPKS1_PKPS1_EvbiiT4_lT5_lllSC_lllT6_lmli
    .private_segment_fixed_size: 0
    .sgpr_count:     30
    .sgpr_spill_count: 0
    .symbol:         _ZL34rocblas_ger_double_buffered_kernelILb0ELi64ELi16ELi2E19rocblas_complex_numIfE24rocblas_internal_val_ptrIS1_EPKPKS1_PKPS1_EvbiiT4_lT5_lllSC_lllT6_lmli.kd
    .uniform_work_group_size: 1
    .uses_dynamic_stack: false
    .vgpr_count:     21
    .vgpr_spill_count: 0
    .wavefront_size: 64
  - .args:
      - .offset:         0
        .size:           4
        .value_kind:     by_value
      - .offset:         4
        .size:           4
        .value_kind:     by_value
      - .address_space:  global
        .offset:         8
        .size:           8
        .value_kind:     global_buffer
      - .offset:         16
        .size:           8
        .value_kind:     by_value
      - .address_space:  global
        .offset:         24
        .size:           8
        .value_kind:     global_buffer
      - .offset:         32
        .size:           8
        .value_kind:     by_value
      - .offset:         40
        .size:           8
        .value_kind:     by_value
      - .offset:         48
        .size:           8
        .value_kind:     by_value
      - .address_space:  global
        .offset:         56
        .size:           8
        .value_kind:     global_buffer
      - .offset:         64
        .size:           8
        .value_kind:     by_value
      - .offset:         72
        .size:           8
        .value_kind:     by_value
      - .offset:         80
        .size:           8
        .value_kind:     by_value
      - .address_space:  global
        .offset:         88
        .size:           8
        .value_kind:     global_buffer
      - .offset:         96
        .size:           8
        .value_kind:     by_value
      - .offset:         104
        .size:           8
        .value_kind:     by_value
      - .offset:         112
        .size:           8
        .value_kind:     by_value
    .group_segment_fixed_size: 0
    .kernarg_segment_align: 8
    .kernarg_segment_size: 120
    .language:       OpenCL C
    .language_version:
      - 2
      - 0
    .max_flat_workgroup_size: 256
    .name:           _ZL26rocblas_sger_gfx942_kernelILi256E19rocblas_complex_numIfEPKS1_PKS3_PKPS1_EviiT1_lT2_lllSA_lllT3_lll
    .private_segment_fixed_size: 0
    .sgpr_count:     4
    .sgpr_spill_count: 0
    .symbol:         _ZL26rocblas_sger_gfx942_kernelILi256E19rocblas_complex_numIfEPKS1_PKS3_PKPS1_EviiT1_lT2_lllSA_lllT3_lll.kd
    .uniform_work_group_size: 1
    .uses_dynamic_stack: false
    .vgpr_count:     0
    .vgpr_spill_count: 0
    .wavefront_size: 64
  - .args:
      - .offset:         0
        .size:           4
        .value_kind:     by_value
      - .offset:         4
        .size:           4
        .value_kind:     by_value
      - .offset:         8
        .size:           8
        .value_kind:     by_value
      - .offset:         16
        .size:           8
        .value_kind:     by_value
      - .address_space:  global
        .offset:         24
        .size:           8
        .value_kind:     global_buffer
      - .offset:         32
        .size:           8
        .value_kind:     by_value
      - .offset:         40
        .size:           8
        .value_kind:     by_value
      - .offset:         48
        .size:           8
        .value_kind:     by_value
      - .address_space:  global
        .offset:         56
        .size:           8
        .value_kind:     global_buffer
      - .offset:         64
        .size:           8
        .value_kind:     by_value
      - .offset:         72
        .size:           8
        .value_kind:     by_value
      - .offset:         80
        .size:           8
        .value_kind:     by_value
      - .address_space:  global
        .offset:         88
        .size:           8
        .value_kind:     global_buffer
      - .offset:         96
        .size:           8
        .value_kind:     by_value
      - .offset:         104
        .size:           8
        .value_kind:     by_value
      - .offset:         112
        .size:           8
        .value_kind:     by_value
    .group_segment_fixed_size: 0
    .kernarg_segment_align: 8
    .kernarg_segment_size: 120
    .language:       OpenCL C
    .language_version:
      - 2
      - 0
    .max_flat_workgroup_size: 256
    .name:           _ZL26rocblas_sger_gfx942_kernelILi256E19rocblas_complex_numIfES1_PKPKS1_PKPS1_EviiT1_lT2_lllSA_lllT3_lll
    .private_segment_fixed_size: 0
    .sgpr_count:     4
    .sgpr_spill_count: 0
    .symbol:         _ZL26rocblas_sger_gfx942_kernelILi256E19rocblas_complex_numIfES1_PKPKS1_PKPS1_EviiT1_lT2_lllSA_lllT3_lll.kd
    .uniform_work_group_size: 1
    .uses_dynamic_stack: false
    .vgpr_count:     0
    .vgpr_spill_count: 0
    .wavefront_size: 64
  - .args:
      - .offset:         0
        .size:           4
        .value_kind:     by_value
      - .offset:         4
        .size:           4
        .value_kind:     by_value
      - .address_space:  global
        .offset:         8
        .size:           8
        .value_kind:     global_buffer
      - .offset:         16
        .size:           8
        .value_kind:     by_value
      - .actual_access:  read_only
        .address_space:  global
        .offset:         24
        .size:           8
        .value_kind:     global_buffer
      - .offset:         32
        .size:           8
        .value_kind:     by_value
      - .offset:         40
        .size:           8
        .value_kind:     by_value
      - .offset:         48
        .size:           8
        .value_kind:     by_value
      - .actual_access:  read_only
        .address_space:  global
        .offset:         56
        .size:           8
        .value_kind:     global_buffer
      - .offset:         64
        .size:           8
        .value_kind:     by_value
      - .offset:         72
        .size:           8
        .value_kind:     by_value
      - .offset:         80
        .size:           8
        .value_kind:     by_value
      - .actual_access:  read_only
        .address_space:  global
        .offset:         88
        .size:           8
        .value_kind:     global_buffer
      - .offset:         96
        .size:           8
        .value_kind:     by_value
      - .offset:         104
        .size:           8
        .value_kind:     by_value
      - .offset:         112
        .size:           8
        .value_kind:     by_value
      - .offset:         120
        .size:           4
        .value_kind:     by_value
    .group_segment_fixed_size: 0
    .kernarg_segment_align: 8
    .kernarg_segment_size: 124
    .language:       OpenCL C
    .language_version:
      - 2
      - 0
    .max_flat_workgroup_size: 1024
    .name:           _ZL19rocblas_sger_kernelILi1024E19rocblas_complex_numIfEPKS1_PKS3_PKPS1_EviiT1_lT2_lllSA_lllT3_lmli
    .private_segment_fixed_size: 0
    .sgpr_count:     32
    .sgpr_spill_count: 0
    .symbol:         _ZL19rocblas_sger_kernelILi1024E19rocblas_complex_numIfEPKS1_PKS3_PKPS1_EviiT1_lT2_lllSA_lllT3_lmli.kd
    .uniform_work_group_size: 1
    .uses_dynamic_stack: false
    .vgpr_count:     13
    .vgpr_spill_count: 0
    .wavefront_size: 64
  - .args:
      - .offset:         0
        .size:           4
        .value_kind:     by_value
      - .offset:         4
        .size:           4
        .value_kind:     by_value
      - .offset:         8
        .size:           8
        .value_kind:     by_value
      - .offset:         16
        .size:           8
        .value_kind:     by_value
      - .actual_access:  read_only
        .address_space:  global
        .offset:         24
        .size:           8
        .value_kind:     global_buffer
      - .offset:         32
        .size:           8
        .value_kind:     by_value
      - .offset:         40
        .size:           8
        .value_kind:     by_value
      - .offset:         48
        .size:           8
        .value_kind:     by_value
      - .actual_access:  read_only
        .address_space:  global
        .offset:         56
        .size:           8
        .value_kind:     global_buffer
      - .offset:         64
        .size:           8
        .value_kind:     by_value
      - .offset:         72
        .size:           8
        .value_kind:     by_value
      - .offset:         80
        .size:           8
        .value_kind:     by_value
      - .actual_access:  read_only
        .address_space:  global
        .offset:         88
        .size:           8
        .value_kind:     global_buffer
      - .offset:         96
        .size:           8
        .value_kind:     by_value
      - .offset:         104
        .size:           8
        .value_kind:     by_value
      - .offset:         112
        .size:           8
        .value_kind:     by_value
      - .offset:         120
        .size:           4
        .value_kind:     by_value
    .group_segment_fixed_size: 0
    .kernarg_segment_align: 8
    .kernarg_segment_size: 124
    .language:       OpenCL C
    .language_version:
      - 2
      - 0
    .max_flat_workgroup_size: 1024
    .name:           _ZL19rocblas_sger_kernelILi1024E19rocblas_complex_numIfES1_PKPKS1_PKPS1_EviiT1_lT2_lllSA_lllT3_lmli
    .private_segment_fixed_size: 0
    .sgpr_count:     32
    .sgpr_spill_count: 0
    .symbol:         _ZL19rocblas_sger_kernelILi1024E19rocblas_complex_numIfES1_PKPKS1_PKPS1_EviiT1_lT2_lllSA_lllT3_lmli.kd
    .uniform_work_group_size: 1
    .uses_dynamic_stack: false
    .vgpr_count:     13
    .vgpr_spill_count: 0
    .wavefront_size: 64
  - .args:
      - .offset:         0
        .size:           4
        .value_kind:     by_value
      - .offset:         4
        .size:           4
        .value_kind:     by_value
      - .address_space:  global
        .offset:         8
        .size:           8
        .value_kind:     global_buffer
      - .offset:         16
        .size:           8
        .value_kind:     by_value
      - .actual_access:  read_only
        .address_space:  global
        .offset:         24
        .size:           8
        .value_kind:     global_buffer
      - .offset:         32
        .size:           8
        .value_kind:     by_value
      - .offset:         40
        .size:           8
        .value_kind:     by_value
      - .offset:         48
        .size:           8
        .value_kind:     by_value
      - .actual_access:  read_only
        .address_space:  global
        .offset:         56
        .size:           8
        .value_kind:     global_buffer
      - .offset:         64
        .size:           8
        .value_kind:     by_value
      - .offset:         72
        .size:           8
        .value_kind:     by_value
      - .offset:         80
        .size:           8
        .value_kind:     by_value
      - .actual_access:  read_only
        .address_space:  global
        .offset:         88
        .size:           8
        .value_kind:     global_buffer
      - .offset:         96
        .size:           8
        .value_kind:     by_value
      - .offset:         104
        .size:           8
        .value_kind:     by_value
      - .offset:         112
        .size:           8
        .value_kind:     by_value
      - .offset:         120
        .size:           4
        .value_kind:     by_value
    .group_segment_fixed_size: 768
    .kernarg_segment_align: 8
    .kernarg_segment_size: 124
    .language:       OpenCL C
    .language_version:
      - 2
      - 0
    .max_flat_workgroup_size: 1024
    .name:           _ZL18rocblas_ger_kernelILi32ELi32ELi2ELb0E19rocblas_complex_numIfEPKS1_PKS3_PKPS1_EviiT4_lT5_lllSA_lllT6_lmli
    .private_segment_fixed_size: 0
    .sgpr_count:     28
    .sgpr_spill_count: 0
    .symbol:         _ZL18rocblas_ger_kernelILi32ELi32ELi2ELb0E19rocblas_complex_numIfEPKS1_PKS3_PKPS1_EviiT4_lT5_lllSA_lllT6_lmli.kd
    .uniform_work_group_size: 1
    .uses_dynamic_stack: false
    .vgpr_count:     13
    .vgpr_spill_count: 0
    .wavefront_size: 64
  - .args:
      - .offset:         0
        .size:           4
        .value_kind:     by_value
      - .offset:         4
        .size:           4
        .value_kind:     by_value
      - .offset:         8
        .size:           8
        .value_kind:     by_value
      - .offset:         16
        .size:           8
        .value_kind:     by_value
      - .actual_access:  read_only
        .address_space:  global
        .offset:         24
        .size:           8
        .value_kind:     global_buffer
      - .offset:         32
        .size:           8
        .value_kind:     by_value
      - .offset:         40
        .size:           8
        .value_kind:     by_value
      - .offset:         48
        .size:           8
        .value_kind:     by_value
      - .actual_access:  read_only
        .address_space:  global
        .offset:         56
        .size:           8
        .value_kind:     global_buffer
      - .offset:         64
        .size:           8
        .value_kind:     by_value
      - .offset:         72
        .size:           8
        .value_kind:     by_value
      - .offset:         80
        .size:           8
        .value_kind:     by_value
      - .actual_access:  read_only
        .address_space:  global
        .offset:         88
        .size:           8
        .value_kind:     global_buffer
      - .offset:         96
        .size:           8
        .value_kind:     by_value
      - .offset:         104
        .size:           8
        .value_kind:     by_value
      - .offset:         112
        .size:           8
        .value_kind:     by_value
      - .offset:         120
        .size:           4
        .value_kind:     by_value
    .group_segment_fixed_size: 768
    .kernarg_segment_align: 8
    .kernarg_segment_size: 124
    .language:       OpenCL C
    .language_version:
      - 2
      - 0
    .max_flat_workgroup_size: 1024
    .name:           _ZL18rocblas_ger_kernelILi32ELi32ELi2ELb0E19rocblas_complex_numIfES1_PKPKS1_PKPS1_EviiT4_lT5_lllSA_lllT6_lmli
    .private_segment_fixed_size: 0
    .sgpr_count:     28
    .sgpr_spill_count: 0
    .symbol:         _ZL18rocblas_ger_kernelILi32ELi32ELi2ELb0E19rocblas_complex_numIfES1_PKPKS1_PKPS1_EviiT4_lT5_lllSA_lllT6_lmli.kd
    .uniform_work_group_size: 1
    .uses_dynamic_stack: false
    .vgpr_count:     13
    .vgpr_spill_count: 0
    .wavefront_size: 64
  - .args:
      - .offset:         0
        .size:           1
        .value_kind:     by_value
      - .offset:         4
        .size:           4
        .value_kind:     by_value
      - .offset:         8
        .size:           4
        .value_kind:     by_value
      - .offset:         16
        .size:           16
        .value_kind:     by_value
      - .offset:         32
        .size:           8
        .value_kind:     by_value
      - .actual_access:  read_only
        .address_space:  global
        .offset:         40
        .size:           8
        .value_kind:     global_buffer
      - .offset:         48
        .size:           8
        .value_kind:     by_value
      - .offset:         56
        .size:           8
        .value_kind:     by_value
      - .offset:         64
        .size:           8
        .value_kind:     by_value
      - .actual_access:  read_only
        .address_space:  global
        .offset:         72
        .size:           8
        .value_kind:     global_buffer
      - .offset:         80
        .size:           8
        .value_kind:     by_value
      - .offset:         88
        .size:           8
        .value_kind:     by_value
      - .offset:         96
        .size:           8
        .value_kind:     by_value
      - .actual_access:  read_only
        .address_space:  global
        .offset:         104
        .size:           8
        .value_kind:     global_buffer
      - .offset:         112
        .size:           8
        .value_kind:     by_value
      - .offset:         120
        .size:           8
        .value_kind:     by_value
      - .offset:         128
        .size:           8
        .value_kind:     by_value
      - .offset:         136
        .size:           4
        .value_kind:     by_value
    .group_segment_fixed_size: 0
    .kernarg_segment_align: 8
    .kernarg_segment_size: 140
    .language:       OpenCL C
    .language_version:
      - 2
      - 0
    .max_flat_workgroup_size: 1024
    .name:           _ZL34rocblas_ger_double_buffered_kernelILb0ELi64ELi16ELi2E19rocblas_complex_numIdE24rocblas_internal_val_ptrIS1_EPKPKS1_PKPS1_EvbiiT4_lT5_lllSC_lllT6_lmli
    .private_segment_fixed_size: 0
    .sgpr_count:     32
    .sgpr_spill_count: 0
    .symbol:         _ZL34rocblas_ger_double_buffered_kernelILb0ELi64ELi16ELi2E19rocblas_complex_numIdE24rocblas_internal_val_ptrIS1_EPKPKS1_PKPS1_EvbiiT4_lT5_lllSC_lllT6_lmli.kd
    .uniform_work_group_size: 1
    .uses_dynamic_stack: false
    .vgpr_count:     37
    .vgpr_spill_count: 0
    .wavefront_size: 64
  - .args:
      - .offset:         0
        .size:           4
        .value_kind:     by_value
      - .offset:         4
        .size:           4
        .value_kind:     by_value
      - .address_space:  global
        .offset:         8
        .size:           8
        .value_kind:     global_buffer
      - .offset:         16
        .size:           8
        .value_kind:     by_value
      - .address_space:  global
        .offset:         24
        .size:           8
        .value_kind:     global_buffer
      - .offset:         32
        .size:           8
        .value_kind:     by_value
      - .offset:         40
        .size:           8
        .value_kind:     by_value
      - .offset:         48
        .size:           8
        .value_kind:     by_value
      - .address_space:  global
        .offset:         56
        .size:           8
        .value_kind:     global_buffer
      - .offset:         64
        .size:           8
        .value_kind:     by_value
      - .offset:         72
        .size:           8
        .value_kind:     by_value
      - .offset:         80
        .size:           8
        .value_kind:     by_value
      - .address_space:  global
        .offset:         88
        .size:           8
        .value_kind:     global_buffer
      - .offset:         96
        .size:           8
        .value_kind:     by_value
      - .offset:         104
        .size:           8
        .value_kind:     by_value
      - .offset:         112
        .size:           8
        .value_kind:     by_value
    .group_segment_fixed_size: 0
    .kernarg_segment_align: 8
    .kernarg_segment_size: 120
    .language:       OpenCL C
    .language_version:
      - 2
      - 0
    .max_flat_workgroup_size: 256
    .name:           _ZL26rocblas_sger_gfx942_kernelILi256E19rocblas_complex_numIdEPKS1_PKS3_PKPS1_EviiT1_lT2_lllSA_lllT3_lll
    .private_segment_fixed_size: 0
    .sgpr_count:     4
    .sgpr_spill_count: 0
    .symbol:         _ZL26rocblas_sger_gfx942_kernelILi256E19rocblas_complex_numIdEPKS1_PKS3_PKPS1_EviiT1_lT2_lllSA_lllT3_lll.kd
    .uniform_work_group_size: 1
    .uses_dynamic_stack: false
    .vgpr_count:     0
    .vgpr_spill_count: 0
    .wavefront_size: 64
  - .args:
      - .offset:         0
        .size:           4
        .value_kind:     by_value
      - .offset:         4
        .size:           4
        .value_kind:     by_value
      - .offset:         8
        .size:           16
        .value_kind:     by_value
      - .offset:         24
        .size:           8
        .value_kind:     by_value
      - .address_space:  global
        .offset:         32
        .size:           8
        .value_kind:     global_buffer
      - .offset:         40
        .size:           8
        .value_kind:     by_value
      - .offset:         48
        .size:           8
        .value_kind:     by_value
      - .offset:         56
        .size:           8
        .value_kind:     by_value
      - .address_space:  global
        .offset:         64
        .size:           8
        .value_kind:     global_buffer
      - .offset:         72
        .size:           8
        .value_kind:     by_value
      - .offset:         80
        .size:           8
        .value_kind:     by_value
      - .offset:         88
        .size:           8
        .value_kind:     by_value
      - .address_space:  global
        .offset:         96
        .size:           8
        .value_kind:     global_buffer
      - .offset:         104
        .size:           8
        .value_kind:     by_value
      - .offset:         112
        .size:           8
        .value_kind:     by_value
      - .offset:         120
        .size:           8
        .value_kind:     by_value
    .group_segment_fixed_size: 0
    .kernarg_segment_align: 8
    .kernarg_segment_size: 128
    .language:       OpenCL C
    .language_version:
      - 2
      - 0
    .max_flat_workgroup_size: 256
    .name:           _ZL26rocblas_sger_gfx942_kernelILi256E19rocblas_complex_numIdES1_PKPKS1_PKPS1_EviiT1_lT2_lllSA_lllT3_lll
    .private_segment_fixed_size: 0
    .sgpr_count:     4
    .sgpr_spill_count: 0
    .symbol:         _ZL26rocblas_sger_gfx942_kernelILi256E19rocblas_complex_numIdES1_PKPKS1_PKPS1_EviiT1_lT2_lllSA_lllT3_lll.kd
    .uniform_work_group_size: 1
    .uses_dynamic_stack: false
    .vgpr_count:     0
    .vgpr_spill_count: 0
    .wavefront_size: 64
  - .args:
      - .offset:         0
        .size:           4
        .value_kind:     by_value
      - .offset:         4
        .size:           4
        .value_kind:     by_value
      - .address_space:  global
        .offset:         8
        .size:           8
        .value_kind:     global_buffer
      - .offset:         16
        .size:           8
        .value_kind:     by_value
      - .actual_access:  read_only
        .address_space:  global
        .offset:         24
        .size:           8
        .value_kind:     global_buffer
      - .offset:         32
        .size:           8
        .value_kind:     by_value
      - .offset:         40
        .size:           8
        .value_kind:     by_value
      - .offset:         48
        .size:           8
        .value_kind:     by_value
      - .actual_access:  read_only
        .address_space:  global
        .offset:         56
        .size:           8
        .value_kind:     global_buffer
      - .offset:         64
        .size:           8
        .value_kind:     by_value
      - .offset:         72
        .size:           8
        .value_kind:     by_value
      - .offset:         80
        .size:           8
        .value_kind:     by_value
      - .actual_access:  read_only
        .address_space:  global
        .offset:         88
        .size:           8
        .value_kind:     global_buffer
      - .offset:         96
        .size:           8
        .value_kind:     by_value
      - .offset:         104
        .size:           8
        .value_kind:     by_value
      - .offset:         112
        .size:           8
        .value_kind:     by_value
      - .offset:         120
        .size:           4
        .value_kind:     by_value
    .group_segment_fixed_size: 0
    .kernarg_segment_align: 8
    .kernarg_segment_size: 124
    .language:       OpenCL C
    .language_version:
      - 2
      - 0
    .max_flat_workgroup_size: 1024
    .name:           _ZL19rocblas_sger_kernelILi1024E19rocblas_complex_numIdEPKS1_PKS3_PKPS1_EviiT1_lT2_lllSA_lllT3_lmli
    .private_segment_fixed_size: 0
    .sgpr_count:     34
    .sgpr_spill_count: 0
    .symbol:         _ZL19rocblas_sger_kernelILi1024E19rocblas_complex_numIdEPKS1_PKS3_PKPS1_EviiT1_lT2_lllSA_lllT3_lmli.kd
    .uniform_work_group_size: 1
    .uses_dynamic_stack: false
    .vgpr_count:     18
    .vgpr_spill_count: 0
    .wavefront_size: 64
  - .args:
      - .offset:         0
        .size:           4
        .value_kind:     by_value
      - .offset:         4
        .size:           4
        .value_kind:     by_value
      - .offset:         8
        .size:           16
        .value_kind:     by_value
      - .offset:         24
        .size:           8
        .value_kind:     by_value
      - .actual_access:  read_only
        .address_space:  global
        .offset:         32
        .size:           8
        .value_kind:     global_buffer
      - .offset:         40
        .size:           8
        .value_kind:     by_value
      - .offset:         48
        .size:           8
        .value_kind:     by_value
      - .offset:         56
        .size:           8
        .value_kind:     by_value
      - .actual_access:  read_only
        .address_space:  global
        .offset:         64
        .size:           8
        .value_kind:     global_buffer
      - .offset:         72
        .size:           8
        .value_kind:     by_value
      - .offset:         80
        .size:           8
        .value_kind:     by_value
      - .offset:         88
        .size:           8
        .value_kind:     by_value
      - .actual_access:  read_only
        .address_space:  global
        .offset:         96
        .size:           8
        .value_kind:     global_buffer
      - .offset:         104
        .size:           8
        .value_kind:     by_value
      - .offset:         112
        .size:           8
        .value_kind:     by_value
      - .offset:         120
        .size:           8
        .value_kind:     by_value
      - .offset:         128
        .size:           4
        .value_kind:     by_value
    .group_segment_fixed_size: 0
    .kernarg_segment_align: 8
    .kernarg_segment_size: 132
    .language:       OpenCL C
    .language_version:
      - 2
      - 0
    .max_flat_workgroup_size: 1024
    .name:           _ZL19rocblas_sger_kernelILi1024E19rocblas_complex_numIdES1_PKPKS1_PKPS1_EviiT1_lT2_lllSA_lllT3_lmli
    .private_segment_fixed_size: 0
    .sgpr_count:     34
    .sgpr_spill_count: 0
    .symbol:         _ZL19rocblas_sger_kernelILi1024E19rocblas_complex_numIdES1_PKPKS1_PKPS1_EviiT1_lT2_lllSA_lllT3_lmli.kd
    .uniform_work_group_size: 1
    .uses_dynamic_stack: false
    .vgpr_count:     18
    .vgpr_spill_count: 0
    .wavefront_size: 64
  - .args:
      - .offset:         0
        .size:           4
        .value_kind:     by_value
      - .offset:         4
        .size:           4
        .value_kind:     by_value
      - .address_space:  global
        .offset:         8
        .size:           8
        .value_kind:     global_buffer
      - .offset:         16
        .size:           8
        .value_kind:     by_value
      - .actual_access:  read_only
        .address_space:  global
        .offset:         24
        .size:           8
        .value_kind:     global_buffer
      - .offset:         32
        .size:           8
        .value_kind:     by_value
      - .offset:         40
        .size:           8
        .value_kind:     by_value
      - .offset:         48
        .size:           8
        .value_kind:     by_value
      - .actual_access:  read_only
        .address_space:  global
        .offset:         56
        .size:           8
        .value_kind:     global_buffer
      - .offset:         64
        .size:           8
        .value_kind:     by_value
      - .offset:         72
        .size:           8
        .value_kind:     by_value
      - .offset:         80
        .size:           8
        .value_kind:     by_value
      - .actual_access:  read_only
        .address_space:  global
        .offset:         88
        .size:           8
        .value_kind:     global_buffer
      - .offset:         96
        .size:           8
        .value_kind:     by_value
      - .offset:         104
        .size:           8
        .value_kind:     by_value
      - .offset:         112
        .size:           8
        .value_kind:     by_value
      - .offset:         120
        .size:           4
        .value_kind:     by_value
    .group_segment_fixed_size: 1536
    .kernarg_segment_align: 8
    .kernarg_segment_size: 124
    .language:       OpenCL C
    .language_version:
      - 2
      - 0
    .max_flat_workgroup_size: 1024
    .name:           _ZL18rocblas_ger_kernelILi32ELi32ELi2ELb0E19rocblas_complex_numIdEPKS1_PKS3_PKPS1_EviiT4_lT5_lllSA_lllT6_lmli
    .private_segment_fixed_size: 0
    .sgpr_count:     30
    .sgpr_spill_count: 0
    .symbol:         _ZL18rocblas_ger_kernelILi32ELi32ELi2ELb0E19rocblas_complex_numIdEPKS1_PKS3_PKPS1_EviiT4_lT5_lllSA_lllT6_lmli.kd
    .uniform_work_group_size: 1
    .uses_dynamic_stack: false
    .vgpr_count:     18
    .vgpr_spill_count: 0
    .wavefront_size: 64
  - .args:
      - .offset:         0
        .size:           4
        .value_kind:     by_value
      - .offset:         4
        .size:           4
        .value_kind:     by_value
      - .offset:         8
        .size:           16
        .value_kind:     by_value
      - .offset:         24
        .size:           8
        .value_kind:     by_value
      - .actual_access:  read_only
        .address_space:  global
        .offset:         32
        .size:           8
        .value_kind:     global_buffer
      - .offset:         40
        .size:           8
        .value_kind:     by_value
      - .offset:         48
        .size:           8
        .value_kind:     by_value
      - .offset:         56
        .size:           8
        .value_kind:     by_value
      - .actual_access:  read_only
        .address_space:  global
        .offset:         64
        .size:           8
        .value_kind:     global_buffer
      - .offset:         72
        .size:           8
        .value_kind:     by_value
      - .offset:         80
        .size:           8
        .value_kind:     by_value
      - .offset:         88
        .size:           8
        .value_kind:     by_value
      - .actual_access:  read_only
        .address_space:  global
        .offset:         96
        .size:           8
        .value_kind:     global_buffer
      - .offset:         104
        .size:           8
        .value_kind:     by_value
      - .offset:         112
        .size:           8
        .value_kind:     by_value
      - .offset:         120
        .size:           8
        .value_kind:     by_value
      - .offset:         128
        .size:           4
        .value_kind:     by_value
    .group_segment_fixed_size: 1536
    .kernarg_segment_align: 8
    .kernarg_segment_size: 132
    .language:       OpenCL C
    .language_version:
      - 2
      - 0
    .max_flat_workgroup_size: 1024
    .name:           _ZL18rocblas_ger_kernelILi32ELi32ELi2ELb0E19rocblas_complex_numIdES1_PKPKS1_PKPS1_EviiT4_lT5_lllSA_lllT6_lmli
    .private_segment_fixed_size: 0
    .sgpr_count:     30
    .sgpr_spill_count: 0
    .symbol:         _ZL18rocblas_ger_kernelILi32ELi32ELi2ELb0E19rocblas_complex_numIdES1_PKPKS1_PKPS1_EviiT4_lT5_lllSA_lllT6_lmli.kd
    .uniform_work_group_size: 1
    .uses_dynamic_stack: false
    .vgpr_count:     18
    .vgpr_spill_count: 0
    .wavefront_size: 64
  - .args:
      - .offset:         0
        .size:           1
        .value_kind:     by_value
      - .offset:         4
        .size:           4
        .value_kind:     by_value
      - .offset:         8
        .size:           4
        .value_kind:     by_value
      - .offset:         16
        .size:           8
        .value_kind:     by_value
      - .offset:         24
        .size:           8
        .value_kind:     by_value
      - .actual_access:  read_only
        .address_space:  global
        .offset:         32
        .size:           8
        .value_kind:     global_buffer
      - .offset:         40
        .size:           8
        .value_kind:     by_value
      - .offset:         48
        .size:           8
        .value_kind:     by_value
      - .offset:         56
        .size:           8
        .value_kind:     by_value
      - .actual_access:  read_only
        .address_space:  global
        .offset:         64
        .size:           8
        .value_kind:     global_buffer
      - .offset:         72
        .size:           8
        .value_kind:     by_value
      - .offset:         80
        .size:           8
        .value_kind:     by_value
      - .offset:         88
        .size:           8
        .value_kind:     by_value
      - .actual_access:  read_only
        .address_space:  global
        .offset:         96
        .size:           8
        .value_kind:     global_buffer
      - .offset:         104
        .size:           8
        .value_kind:     by_value
      - .offset:         112
        .size:           8
        .value_kind:     by_value
      - .offset:         120
        .size:           8
        .value_kind:     by_value
      - .offset:         128
        .size:           4
        .value_kind:     by_value
    .group_segment_fixed_size: 0
    .kernarg_segment_align: 8
    .kernarg_segment_size: 132
    .language:       OpenCL C
    .language_version:
      - 2
      - 0
    .max_flat_workgroup_size: 1024
    .name:           _ZL34rocblas_ger_double_buffered_kernelILb1ELi64ELi16ELi2E19rocblas_complex_numIfE24rocblas_internal_val_ptrIS1_EPKPKS1_PKPS1_EvbiiT4_lT5_lllSC_lllT6_lmli
    .private_segment_fixed_size: 0
    .sgpr_count:     30
    .sgpr_spill_count: 0
    .symbol:         _ZL34rocblas_ger_double_buffered_kernelILb1ELi64ELi16ELi2E19rocblas_complex_numIfE24rocblas_internal_val_ptrIS1_EPKPKS1_PKPS1_EvbiiT4_lT5_lllSC_lllT6_lmli.kd
    .uniform_work_group_size: 1
    .uses_dynamic_stack: false
    .vgpr_count:     21
    .vgpr_spill_count: 0
    .wavefront_size: 64
  - .args:
      - .offset:         0
        .size:           4
        .value_kind:     by_value
      - .offset:         4
        .size:           4
        .value_kind:     by_value
      - .address_space:  global
        .offset:         8
        .size:           8
        .value_kind:     global_buffer
      - .offset:         16
        .size:           8
        .value_kind:     by_value
      - .actual_access:  read_only
        .address_space:  global
        .offset:         24
        .size:           8
        .value_kind:     global_buffer
      - .offset:         32
        .size:           8
        .value_kind:     by_value
      - .offset:         40
        .size:           8
        .value_kind:     by_value
      - .offset:         48
        .size:           8
        .value_kind:     by_value
      - .actual_access:  read_only
        .address_space:  global
        .offset:         56
        .size:           8
        .value_kind:     global_buffer
      - .offset:         64
        .size:           8
        .value_kind:     by_value
      - .offset:         72
        .size:           8
        .value_kind:     by_value
      - .offset:         80
        .size:           8
        .value_kind:     by_value
      - .actual_access:  read_only
        .address_space:  global
        .offset:         88
        .size:           8
        .value_kind:     global_buffer
      - .offset:         96
        .size:           8
        .value_kind:     by_value
      - .offset:         104
        .size:           8
        .value_kind:     by_value
      - .offset:         112
        .size:           8
        .value_kind:     by_value
      - .offset:         120
        .size:           4
        .value_kind:     by_value
    .group_segment_fixed_size: 768
    .kernarg_segment_align: 8
    .kernarg_segment_size: 124
    .language:       OpenCL C
    .language_version:
      - 2
      - 0
    .max_flat_workgroup_size: 1024
    .name:           _ZL18rocblas_ger_kernelILi32ELi32ELi2ELb1E19rocblas_complex_numIfEPKS1_PKS3_PKPS1_EviiT4_lT5_lllSA_lllT6_lmli
    .private_segment_fixed_size: 0
    .sgpr_count:     28
    .sgpr_spill_count: 0
    .symbol:         _ZL18rocblas_ger_kernelILi32ELi32ELi2ELb1E19rocblas_complex_numIfEPKS1_PKS3_PKPS1_EviiT4_lT5_lllSA_lllT6_lmli.kd
    .uniform_work_group_size: 1
    .uses_dynamic_stack: false
    .vgpr_count:     13
    .vgpr_spill_count: 0
    .wavefront_size: 64
  - .args:
      - .offset:         0
        .size:           4
        .value_kind:     by_value
      - .offset:         4
        .size:           4
        .value_kind:     by_value
      - .offset:         8
        .size:           8
        .value_kind:     by_value
      - .offset:         16
        .size:           8
        .value_kind:     by_value
      - .actual_access:  read_only
        .address_space:  global
        .offset:         24
        .size:           8
        .value_kind:     global_buffer
      - .offset:         32
        .size:           8
        .value_kind:     by_value
      - .offset:         40
        .size:           8
        .value_kind:     by_value
      - .offset:         48
        .size:           8
        .value_kind:     by_value
      - .actual_access:  read_only
        .address_space:  global
        .offset:         56
        .size:           8
        .value_kind:     global_buffer
      - .offset:         64
        .size:           8
        .value_kind:     by_value
      - .offset:         72
        .size:           8
        .value_kind:     by_value
      - .offset:         80
        .size:           8
        .value_kind:     by_value
      - .actual_access:  read_only
        .address_space:  global
        .offset:         88
        .size:           8
        .value_kind:     global_buffer
      - .offset:         96
        .size:           8
        .value_kind:     by_value
      - .offset:         104
        .size:           8
        .value_kind:     by_value
      - .offset:         112
        .size:           8
        .value_kind:     by_value
      - .offset:         120
        .size:           4
        .value_kind:     by_value
    .group_segment_fixed_size: 768
    .kernarg_segment_align: 8
    .kernarg_segment_size: 124
    .language:       OpenCL C
    .language_version:
      - 2
      - 0
    .max_flat_workgroup_size: 1024
    .name:           _ZL18rocblas_ger_kernelILi32ELi32ELi2ELb1E19rocblas_complex_numIfES1_PKPKS1_PKPS1_EviiT4_lT5_lllSA_lllT6_lmli
    .private_segment_fixed_size: 0
    .sgpr_count:     28
    .sgpr_spill_count: 0
    .symbol:         _ZL18rocblas_ger_kernelILi32ELi32ELi2ELb1E19rocblas_complex_numIfES1_PKPKS1_PKPS1_EviiT4_lT5_lllSA_lllT6_lmli.kd
    .uniform_work_group_size: 1
    .uses_dynamic_stack: false
    .vgpr_count:     13
    .vgpr_spill_count: 0
    .wavefront_size: 64
  - .args:
      - .offset:         0
        .size:           1
        .value_kind:     by_value
      - .offset:         4
        .size:           4
        .value_kind:     by_value
      - .offset:         8
        .size:           4
        .value_kind:     by_value
      - .offset:         16
        .size:           16
        .value_kind:     by_value
      - .offset:         32
        .size:           8
        .value_kind:     by_value
      - .actual_access:  read_only
        .address_space:  global
        .offset:         40
        .size:           8
        .value_kind:     global_buffer
      - .offset:         48
        .size:           8
        .value_kind:     by_value
      - .offset:         56
        .size:           8
        .value_kind:     by_value
      - .offset:         64
        .size:           8
        .value_kind:     by_value
      - .actual_access:  read_only
        .address_space:  global
        .offset:         72
        .size:           8
        .value_kind:     global_buffer
      - .offset:         80
        .size:           8
        .value_kind:     by_value
      - .offset:         88
        .size:           8
        .value_kind:     by_value
      - .offset:         96
        .size:           8
        .value_kind:     by_value
      - .actual_access:  read_only
        .address_space:  global
        .offset:         104
        .size:           8
        .value_kind:     global_buffer
      - .offset:         112
        .size:           8
        .value_kind:     by_value
      - .offset:         120
        .size:           8
        .value_kind:     by_value
      - .offset:         128
        .size:           8
        .value_kind:     by_value
      - .offset:         136
        .size:           4
        .value_kind:     by_value
    .group_segment_fixed_size: 0
    .kernarg_segment_align: 8
    .kernarg_segment_size: 140
    .language:       OpenCL C
    .language_version:
      - 2
      - 0
    .max_flat_workgroup_size: 1024
    .name:           _ZL34rocblas_ger_double_buffered_kernelILb1ELi64ELi16ELi2E19rocblas_complex_numIdE24rocblas_internal_val_ptrIS1_EPKPKS1_PKPS1_EvbiiT4_lT5_lllSC_lllT6_lmli
    .private_segment_fixed_size: 0
    .sgpr_count:     32
    .sgpr_spill_count: 0
    .symbol:         _ZL34rocblas_ger_double_buffered_kernelILb1ELi64ELi16ELi2E19rocblas_complex_numIdE24rocblas_internal_val_ptrIS1_EPKPKS1_PKPS1_EvbiiT4_lT5_lllSC_lllT6_lmli.kd
    .uniform_work_group_size: 1
    .uses_dynamic_stack: false
    .vgpr_count:     37
    .vgpr_spill_count: 0
    .wavefront_size: 64
  - .args:
      - .offset:         0
        .size:           4
        .value_kind:     by_value
      - .offset:         4
        .size:           4
        .value_kind:     by_value
      - .address_space:  global
        .offset:         8
        .size:           8
        .value_kind:     global_buffer
      - .offset:         16
        .size:           8
        .value_kind:     by_value
      - .actual_access:  read_only
        .address_space:  global
        .offset:         24
        .size:           8
        .value_kind:     global_buffer
      - .offset:         32
        .size:           8
        .value_kind:     by_value
      - .offset:         40
        .size:           8
        .value_kind:     by_value
      - .offset:         48
        .size:           8
        .value_kind:     by_value
      - .actual_access:  read_only
        .address_space:  global
        .offset:         56
        .size:           8
        .value_kind:     global_buffer
      - .offset:         64
        .size:           8
        .value_kind:     by_value
      - .offset:         72
        .size:           8
        .value_kind:     by_value
      - .offset:         80
        .size:           8
        .value_kind:     by_value
      - .actual_access:  read_only
        .address_space:  global
        .offset:         88
        .size:           8
        .value_kind:     global_buffer
      - .offset:         96
        .size:           8
        .value_kind:     by_value
      - .offset:         104
        .size:           8
        .value_kind:     by_value
      - .offset:         112
        .size:           8
        .value_kind:     by_value
      - .offset:         120
        .size:           4
        .value_kind:     by_value
    .group_segment_fixed_size: 1536
    .kernarg_segment_align: 8
    .kernarg_segment_size: 124
    .language:       OpenCL C
    .language_version:
      - 2
      - 0
    .max_flat_workgroup_size: 1024
    .name:           _ZL18rocblas_ger_kernelILi32ELi32ELi2ELb1E19rocblas_complex_numIdEPKS1_PKS3_PKPS1_EviiT4_lT5_lllSA_lllT6_lmli
    .private_segment_fixed_size: 0
    .sgpr_count:     30
    .sgpr_spill_count: 0
    .symbol:         _ZL18rocblas_ger_kernelILi32ELi32ELi2ELb1E19rocblas_complex_numIdEPKS1_PKS3_PKPS1_EviiT4_lT5_lllSA_lllT6_lmli.kd
    .uniform_work_group_size: 1
    .uses_dynamic_stack: false
    .vgpr_count:     18
    .vgpr_spill_count: 0
    .wavefront_size: 64
  - .args:
      - .offset:         0
        .size:           4
        .value_kind:     by_value
      - .offset:         4
        .size:           4
        .value_kind:     by_value
      - .offset:         8
        .size:           16
        .value_kind:     by_value
      - .offset:         24
        .size:           8
        .value_kind:     by_value
      - .actual_access:  read_only
        .address_space:  global
        .offset:         32
        .size:           8
        .value_kind:     global_buffer
      - .offset:         40
        .size:           8
        .value_kind:     by_value
      - .offset:         48
        .size:           8
        .value_kind:     by_value
      - .offset:         56
        .size:           8
        .value_kind:     by_value
      - .actual_access:  read_only
        .address_space:  global
        .offset:         64
        .size:           8
        .value_kind:     global_buffer
      - .offset:         72
        .size:           8
        .value_kind:     by_value
      - .offset:         80
        .size:           8
        .value_kind:     by_value
      - .offset:         88
        .size:           8
        .value_kind:     by_value
      - .actual_access:  read_only
        .address_space:  global
        .offset:         96
        .size:           8
        .value_kind:     global_buffer
      - .offset:         104
        .size:           8
        .value_kind:     by_value
      - .offset:         112
        .size:           8
        .value_kind:     by_value
      - .offset:         120
        .size:           8
        .value_kind:     by_value
      - .offset:         128
        .size:           4
        .value_kind:     by_value
    .group_segment_fixed_size: 1536
    .kernarg_segment_align: 8
    .kernarg_segment_size: 132
    .language:       OpenCL C
    .language_version:
      - 2
      - 0
    .max_flat_workgroup_size: 1024
    .name:           _ZL18rocblas_ger_kernelILi32ELi32ELi2ELb1E19rocblas_complex_numIdES1_PKPKS1_PKPS1_EviiT4_lT5_lllSA_lllT6_lmli
    .private_segment_fixed_size: 0
    .sgpr_count:     30
    .sgpr_spill_count: 0
    .symbol:         _ZL18rocblas_ger_kernelILi32ELi32ELi2ELb1E19rocblas_complex_numIdES1_PKPKS1_PKPS1_EviiT4_lT5_lllSA_lllT6_lmli.kd
    .uniform_work_group_size: 1
    .uses_dynamic_stack: false
    .vgpr_count:     18
    .vgpr_spill_count: 0
    .wavefront_size: 64
amdhsa.target:   amdgcn-amd-amdhsa--gfx906
amdhsa.version:
  - 1
  - 2
...

	.end_amdgpu_metadata
